;; amdgpu-corpus repo=ROCm/rocFFT kind=compiled arch=gfx906 opt=O3
	.text
	.amdgcn_target "amdgcn-amd-amdhsa--gfx906"
	.amdhsa_code_object_version 6
	.protected	bluestein_single_back_len224_dim1_sp_op_CI_CI ; -- Begin function bluestein_single_back_len224_dim1_sp_op_CI_CI
	.globl	bluestein_single_back_len224_dim1_sp_op_CI_CI
	.p2align	8
	.type	bluestein_single_back_len224_dim1_sp_op_CI_CI,@function
bluestein_single_back_len224_dim1_sp_op_CI_CI: ; @bluestein_single_back_len224_dim1_sp_op_CI_CI
; %bb.0:
	s_load_dwordx4 s[16:19], s[4:5], 0x28
	v_lshrrev_b32_e32 v30, 4, v0
	v_lshl_or_b32 v64, s6, 2, v30
	v_mov_b32_e32 v65, 0
	s_waitcnt lgkmcnt(0)
	v_cmp_gt_u64_e32 vcc, s[16:17], v[64:65]
	s_and_saveexec_b64 s[0:1], vcc
	s_cbranch_execz .LBB0_2
; %bb.1:
	s_load_dwordx4 s[0:3], s[4:5], 0x18
	s_load_dwordx4 s[8:11], s[4:5], 0x0
	v_and_b32_e32 v100, 15, v0
	v_mov_b32_e32 v7, s19
	v_lshlrev_b32_e32 v104, 3, v100
	s_waitcnt lgkmcnt(0)
	s_load_dwordx4 s[12:15], s[0:1], 0x0
	s_add_u32 s6, s8, 0x700
	s_addc_u32 s7, s9, 0
	v_mov_b32_e32 v101, 0xfffffa80
	v_mul_u32_u24_e32 v88, 0xe0, v30
	s_waitcnt lgkmcnt(0)
	v_mad_u64_u32 v[0:1], s[0:1], s14, v64, 0
	v_mad_u64_u32 v[2:3], s[0:1], s12, v100, 0
	v_or_b32_e32 v59, v88, v100
	v_lshlrev_b32_e32 v103, 3, v59
	v_mad_u64_u32 v[4:5], s[0:1], s15, v64, v[1:2]
	v_lshl_or_b32 v102, v88, 3, v104
	v_or_b32_e32 v86, 48, v100
	v_mad_u64_u32 v[5:6], s[0:1], s13, v100, v[3:4]
	v_mov_b32_e32 v1, v4
	v_lshlrev_b64 v[0:1], 3, v[0:1]
	v_mov_b32_e32 v3, v5
	v_add_co_u32_e32 v4, vcc, s18, v0
	v_addc_co_u32_e32 v5, vcc, v7, v1, vcc
	v_lshlrev_b64 v[0:1], 3, v[2:3]
	s_lshl_b64 s[0:1], s[12:13], 8
	v_add_co_u32_e32 v0, vcc, v4, v0
	v_addc_co_u32_e32 v1, vcc, v5, v1, vcc
	v_mov_b32_e32 v29, s1
	v_add_co_u32_e32 v10, vcc, s0, v0
	v_addc_co_u32_e32 v11, vcc, v1, v29, vcc
	v_add_co_u32_e32 v12, vcc, s0, v10
	v_addc_co_u32_e32 v13, vcc, v11, v29, vcc
	;; [unrolled: 2-line block ×4, first 2 shown]
	global_load_dwordx2 v[31:32], v[0:1], off
	global_load_dwordx2 v[6:7], v104, s[8:9]
	global_load_dwordx2 v[8:9], v104, s[8:9] offset:256
	global_load_dwordx2 v[2:3], v104, s[8:9] offset:768
	s_mul_i32 s1, s13, 0xfffffa80
	global_load_dwordx2 v[0:1], v104, s[8:9] offset:512
	global_load_dwordx2 v[33:34], v[10:11], off
	global_load_dwordx2 v[35:36], v[12:13], off
	;; [unrolled: 1-line block ×4, first 2 shown]
	global_load_dwordx2 v[4:5], v104, s[8:9] offset:1024
	v_add_co_u32_e32 v12, vcc, s0, v16
	v_addc_co_u32_e32 v13, vcc, v17, v29, vcc
	global_load_dwordx2 v[41:42], v[12:13], off
	global_load_dwordx2 v[10:11], v104, s[8:9] offset:1280
	v_add_co_u32_e32 v12, vcc, s0, v12
	v_addc_co_u32_e32 v13, vcc, v13, v29, vcc
	v_mad_u64_u32 v[16:17], s[14:15], s12, v101, v[12:13]
	s_sub_i32 s1, s1, s12
	global_load_dwordx2 v[43:44], v[12:13], off
	global_load_dwordx2 v[14:15], v104, s[8:9] offset:1536
	v_add_u32_e32 v17, s1, v17
	global_load_dwordx2 v[45:46], v[16:17], off
	global_load_dwordx2 v[12:13], v104, s[8:9] offset:384
	global_load_dwordx2 v[22:23], v104, s[8:9] offset:128
	v_add_co_u32_e32 v16, vcc, s0, v16
	v_addc_co_u32_e32 v17, vcc, v17, v29, vcc
	global_load_dwordx2 v[47:48], v[16:17], off
	v_add_co_u32_e32 v18, vcc, s0, v16
	v_addc_co_u32_e32 v19, vcc, v17, v29, vcc
	global_load_dwordx2 v[49:50], v[18:19], off
	global_load_dwordx2 v[16:17], v104, s[8:9] offset:896
	global_load_dwordx2 v[24:25], v104, s[8:9] offset:640
	v_add_co_u32_e32 v18, vcc, s0, v18
	v_addc_co_u32_e32 v19, vcc, v19, v29, vcc
	global_load_dwordx2 v[51:52], v[18:19], off
	v_add_co_u32_e32 v20, vcc, s0, v18
	v_addc_co_u32_e32 v21, vcc, v19, v29, vcc
	;; [unrolled: 8-line block ×3, first 2 shown]
	global_load_dwordx2 v[57:58], v[28:29], off
	global_load_dwordx2 v[20:21], v104, s[8:9] offset:1664
	s_load_dwordx4 s[0:3], s[2:3], 0x0
	v_or_b32_e32 v89, 32, v100
	v_mul_lo_u16_e32 v90, 37, v89
	v_lshrrev_b16_e32 v91, 8, v90
	v_or_b32_e32 v74, 0x50, v100
	s_waitcnt lgkmcnt(0)
	v_mad_u64_u32 v[28:29], s[12:13], s2, v64, 0
	s_mov_b32 s12, 0x3f5ff5aa
	v_mul_lo_u16_e32 v75, 0x93, v74
	v_mad_u64_u32 v[29:30], s[2:3], s3, v64, v[29:30]
	s_mov_b32 s2, 0x3f3bfb3b
	s_mov_b32 s3, 0xbf3bfb3b
	v_or_b32_e32 v64, 16, v100
	v_mul_lo_u16_e32 v84, 37, v64
	v_lshrrev_b16_e32 v85, 8, v84
	v_lshrrev_b16_e32 v97, 10, v75
	v_or_b32_e32 v70, 0x60, v100
	v_mul_lo_u16_e32 v71, 0x93, v70
	v_lshrrev_b16_e32 v99, 10, v71
	v_lshrrev_b16_e32 v125, 11, v75
	;; [unrolled: 1-line block ×5, first 2 shown]
	v_mul_lo_u16_e32 v71, 28, v71
	s_load_dwordx2 s[4:5], s[4:5], 0x38
	s_waitcnt vmcnt(26)
	v_mul_f32_e32 v30, v32, v7
	v_fmac_f32_e32 v30, v31, v6
	v_mul_f32_e32 v31, v31, v7
	v_fma_f32 v31, v32, v6, -v31
	ds_write_b64 v103, v[30:31]
	s_waitcnt vmcnt(22)
	v_mul_f32_e32 v30, v34, v9
	v_mul_f32_e32 v31, v33, v9
	v_fmac_f32_e32 v30, v33, v8
	v_fma_f32 v31, v34, v8, -v31
	s_waitcnt vmcnt(21)
	v_mul_f32_e32 v32, v36, v1
	v_mul_f32_e32 v33, v35, v1
	s_waitcnt vmcnt(20)
	v_mul_f32_e32 v34, v38, v3
	v_fmac_f32_e32 v32, v35, v0
	v_fma_f32 v33, v36, v0, -v33
	v_fmac_f32_e32 v34, v37, v2
	v_mul_f32_e32 v35, v37, v3
	s_waitcnt vmcnt(18)
	v_mul_f32_e32 v36, v40, v5
	v_mul_f32_e32 v37, v39, v5
	v_fma_f32 v35, v38, v2, -v35
	v_fmac_f32_e32 v36, v39, v4
	v_fma_f32 v37, v40, v4, -v37
	s_waitcnt vmcnt(16)
	v_mul_f32_e32 v38, v42, v11
	v_mul_f32_e32 v39, v41, v11
	s_waitcnt vmcnt(14)
	v_mul_f32_e32 v40, v44, v15
	v_fmac_f32_e32 v38, v41, v10
	v_fma_f32 v39, v42, v10, -v39
	v_fmac_f32_e32 v40, v43, v14
	v_mul_f32_e32 v41, v43, v15
	s_waitcnt vmcnt(11)
	v_mul_f32_e32 v42, v46, v23
	v_mul_f32_e32 v43, v45, v23
	v_fmac_f32_e32 v42, v45, v22
	v_fma_f32 v43, v46, v22, -v43
	ds_write2_b64 v102, v[42:43], v[30:31] offset0:16 offset1:32
	s_waitcnt vmcnt(10)
	v_mul_f32_e32 v30, v48, v13
	v_mul_f32_e32 v31, v47, v13
	v_fmac_f32_e32 v30, v47, v12
	v_fma_f32 v31, v48, v12, -v31
	ds_write2_b64 v102, v[30:31], v[32:33] offset0:48 offset1:64
	;; [unrolled: 6-line block ×5, first 2 shown]
	s_waitcnt vmcnt(2)
	v_mul_f32_e32 v30, v56, v19
	v_mul_f32_e32 v31, v55, v19
	v_fma_f32 v41, v44, v14, -v41
	v_fmac_f32_e32 v30, v55, v18
	v_fma_f32 v31, v56, v18, -v31
	ds_write2_b64 v102, v[30:31], v[40:41] offset0:176 offset1:192
	s_waitcnt vmcnt(0)
	v_mul_f32_e32 v30, v58, v21
	v_mul_f32_e32 v31, v57, v21
	v_fmac_f32_e32 v30, v57, v20
	v_fma_f32 v31, v58, v20, -v31
	ds_write_b64 v102, v[30:31] offset:1664
	s_waitcnt lgkmcnt(0)
	; wave barrier
	s_waitcnt lgkmcnt(0)
	ds_read2_b64 v[30:33], v102 offset0:16 offset1:32
	ds_read2_b64 v[34:37], v102 offset0:48 offset1:64
	;; [unrolled: 1-line block ×6, first 2 shown]
	ds_read_b64 v[54:55], v103
	ds_read_b64 v[56:57], v102 offset:1664
	s_waitcnt lgkmcnt(4)
	v_add_f32_e32 v58, v32, v44
	v_sub_f32_e32 v32, v32, v44
	s_waitcnt lgkmcnt(2)
	v_add_f32_e32 v44, v36, v52
	v_add_f32_e32 v59, v33, v45
	v_sub_f32_e32 v33, v33, v45
	v_add_f32_e32 v45, v37, v53
	v_sub_f32_e32 v36, v36, v52
	v_sub_f32_e32 v37, v37, v53
	v_add_f32_e32 v52, v40, v48
	v_add_f32_e32 v53, v38, v42
	;; [unrolled: 1-line block ×3, first 2 shown]
	v_sub_f32_e32 v61, v38, v42
	v_sub_f32_e32 v62, v39, v43
	v_add_f32_e32 v38, v41, v49
	v_sub_f32_e32 v39, v48, v40
	v_sub_f32_e32 v40, v49, v41
	v_add_f32_e32 v41, v44, v58
	s_waitcnt lgkmcnt(0)
	v_add_f32_e32 v48, v34, v56
	v_add_f32_e32 v49, v35, v57
	v_sub_f32_e32 v56, v34, v56
	v_sub_f32_e32 v57, v35, v57
	v_add_f32_e32 v34, v45, v59
	v_sub_f32_e32 v35, v44, v58
	v_sub_f32_e32 v42, v45, v59
	v_sub_f32_e32 v43, v58, v52
	v_sub_f32_e32 v58, v59, v38
	v_add_f32_e32 v59, v39, v36
	v_add_f32_e32 v41, v52, v41
	v_sub_f32_e32 v44, v52, v44
	v_add_f32_e32 v63, v40, v37
	v_sub_f32_e32 v52, v39, v36
	;; [unrolled: 2-line block ×3, first 2 shown]
	v_sub_f32_e32 v36, v36, v32
	v_add_f32_e32 v59, v59, v32
	v_add_f32_e32 v32, v54, v41
	v_sub_f32_e32 v45, v38, v45
	v_sub_f32_e32 v38, v40, v37
	v_sub_f32_e32 v40, v33, v40
	v_sub_f32_e32 v37, v37, v33
	v_add_f32_e32 v63, v63, v33
	v_add_f32_e32 v33, v55, v34
	v_mul_f32_e32 v54, 0x3f4a47b2, v58
	v_mov_b32_e32 v58, v32
	v_fmac_f32_e32 v58, 0xbf955555, v41
	v_mov_b32_e32 v41, v33
	v_fmac_f32_e32 v41, 0xbf955555, v34
	v_mul_f32_e32 v34, 0x3d64c772, v45
	v_mul_f32_e32 v43, 0x3f4a47b2, v43
	;; [unrolled: 1-line block ×4, first 2 shown]
	v_fma_f32 v34, v42, s2, -v34
	v_fma_f32 v42, v42, s3, -v54
	v_fmac_f32_e32 v54, 0x3d64c772, v45
	v_mul_f32_e32 v45, 0xbf5ff5aa, v37
	v_mul_f32_e32 v66, 0xbf08b237, v38
	v_fma_f32 v38, v35, s2, -v55
	v_fma_f32 v35, v35, s3, -v43
	v_fmac_f32_e32 v43, 0x3d64c772, v44
	v_fma_f32 v55, v36, s12, -v52
	v_fmac_f32_e32 v52, 0x3eae86e6, v39
	v_fmac_f32_e32 v45, 0xbeae86e6, v40
	v_add_f32_e32 v68, v43, v58
	v_add_f32_e32 v54, v54, v41
	;; [unrolled: 1-line block ×3, first 2 shown]
	v_fmac_f32_e32 v52, 0x3ee1c552, v59
	v_fmac_f32_e32 v45, 0x3ee1c552, v63
	v_mul_f32_e32 v44, 0xbf5ff5aa, v36
	v_fma_f32 v67, v37, s12, -v66
	v_fmac_f32_e32 v66, 0x3eae86e6, v40
	v_add_f32_e32 v38, v38, v58
	v_add_f32_e32 v58, v42, v41
	v_sub_f32_e32 v35, v54, v52
	v_add_f32_e32 v40, v45, v43
	v_sub_f32_e32 v42, v43, v45
	v_add_f32_e32 v45, v52, v54
	v_add_f32_e32 v52, v46, v50
	v_sub_f32_e32 v46, v50, v46
	v_add_f32_e32 v50, v53, v48
	v_fmac_f32_e32 v44, 0xbeae86e6, v39
	v_add_f32_e32 v54, v47, v51
	v_sub_f32_e32 v47, v51, v47
	v_add_f32_e32 v51, v60, v49
	v_add_f32_e32 v50, v52, v50
	;; [unrolled: 1-line block ×3, first 2 shown]
	v_fmac_f32_e32 v66, 0x3ee1c552, v63
	v_fmac_f32_e32 v55, 0x3ee1c552, v59
	;; [unrolled: 1-line block ×4, first 2 shown]
	v_add_f32_e32 v51, v54, v51
	v_add_f32_e32 v30, v30, v50
	;; [unrolled: 1-line block ×3, first 2 shown]
	v_sub_f32_e32 v36, v38, v67
	v_add_f32_e32 v37, v55, v39
	v_add_f32_e32 v38, v67, v38
	v_sub_f32_e32 v39, v39, v55
	v_sub_f32_e32 v41, v58, v44
	v_add_f32_e32 v43, v44, v58
	v_sub_f32_e32 v44, v68, v66
	v_sub_f32_e32 v55, v53, v48
	;; [unrolled: 1-line block ×7, first 2 shown]
	v_add_f32_e32 v60, v46, v61
	v_add_f32_e32 v63, v47, v62
	v_sub_f32_e32 v67, v47, v62
	v_add_f32_e32 v31, v31, v51
	v_mov_b32_e32 v68, v30
	v_sub_f32_e32 v66, v46, v61
	v_sub_f32_e32 v46, v56, v46
	;; [unrolled: 1-line block ×5, first 2 shown]
	v_add_f32_e32 v52, v60, v56
	v_add_f32_e32 v54, v63, v57
	v_mul_f32_e32 v48, 0x3f4a47b2, v48
	v_mul_f32_e32 v49, 0x3f4a47b2, v49
	;; [unrolled: 1-line block ×5, first 2 shown]
	v_fmac_f32_e32 v68, 0xbf955555, v50
	v_mov_b32_e32 v50, v31
	v_mul_f32_e32 v60, 0xbf08b237, v66
	v_mul_f32_e32 v66, 0xbf5ff5aa, v61
	v_fmac_f32_e32 v50, 0xbf955555, v51
	v_fma_f32 v51, v55, s2, -v56
	v_fma_f32 v56, v58, s2, -v57
	;; [unrolled: 1-line block ×3, first 2 shown]
	v_fmac_f32_e32 v48, 0x3d64c772, v53
	v_fma_f32 v53, v58, s3, -v49
	v_fma_f32 v58, v62, s12, -v63
	v_mul_f32_e32 v67, 0xbf5ff5aa, v62
	v_fmac_f32_e32 v49, 0x3d64c772, v59
	v_fma_f32 v57, v61, s12, -v60
	v_fmac_f32_e32 v60, 0x3eae86e6, v46
	v_fmac_f32_e32 v66, 0xbeae86e6, v46
	v_add_f32_e32 v62, v51, v68
	v_fmac_f32_e32 v58, 0x3ee1c552, v54
	v_add_f32_e32 v59, v48, v68
	v_add_f32_e32 v61, v49, v50
	;; [unrolled: 1-line block ×5, first 2 shown]
	v_fmac_f32_e32 v60, 0x3ee1c552, v52
	v_fmac_f32_e32 v57, 0x3ee1c552, v52
	;; [unrolled: 1-line block ×3, first 2 shown]
	v_sub_f32_e32 v50, v62, v58
	v_add_f32_e32 v52, v58, v62
	v_mul_u32_u24_e32 v58, 7, v100
	v_fmac_f32_e32 v63, 0x3eae86e6, v47
	v_add_lshl_u32 v106, v88, v58, 3
	v_fmac_f32_e32 v67, 0xbeae86e6, v47
	v_fmac_f32_e32 v63, 0x3ee1c552, v54
	s_waitcnt lgkmcnt(0)
	; wave barrier
	ds_write2_b64 v106, v[32:33], v[34:35] offset1:1
	ds_write2_b64 v106, v[40:41], v[36:37] offset0:2 offset1:3
	ds_write2_b64 v106, v[38:39], v[42:43] offset0:4 offset1:5
	ds_write_b64 v106, v[44:45] offset:48
	v_mul_u32_u24_e32 v32, 7, v64
	v_fmac_f32_e32 v67, 0x3ee1c552, v54
	v_add_f32_e32 v46, v59, v63
	v_sub_f32_e32 v47, v61, v60
	v_add_lshl_u32 v105, v88, v32, 3
	v_add_f32_e32 v48, v67, v55
	v_sub_f32_e32 v49, v68, v66
	v_add_f32_e32 v51, v57, v56
	v_sub_f32_e32 v53, v56, v57
	v_sub_f32_e32 v54, v55, v67
	v_add_f32_e32 v55, v66, v68
	v_sub_f32_e32 v56, v59, v63
	v_add_f32_e32 v57, v60, v61
	ds_write2_b64 v105, v[30:31], v[46:47] offset1:1
	ds_write2_b64 v105, v[48:49], v[50:51] offset0:2 offset1:3
	ds_write2_b64 v105, v[52:53], v[54:55] offset0:4 offset1:5
	ds_write_b64 v105, v[56:57] offset:48
	v_mul_lo_u16_e32 v30, 37, v100
	v_lshrrev_b16_e32 v61, 8, v30
	v_mul_lo_u16_e32 v30, 7, v61
	v_mul_lo_u16_e32 v31, 7, v85
	v_sub_u16_e32 v63, v100, v30
	v_mov_b32_e32 v58, 3
	v_sub_u16_e32 v87, v64, v31
	v_mul_lo_u16_e32 v59, 37, v86
	v_lshlrev_b32_sdwa v30, v58, v63 dst_sel:DWORD dst_unused:UNUSED_PAD src0_sel:DWORD src1_sel:BYTE_0
	v_lshlrev_b32_sdwa v31, v58, v87 dst_sel:DWORD dst_unused:UNUSED_PAD src0_sel:DWORD src1_sel:BYTE_0
	v_lshrrev_b16_e32 v93, 8, v59
	s_waitcnt lgkmcnt(0)
	; wave barrier
	s_waitcnt lgkmcnt(0)
	v_mul_lo_u16_e32 v32, 7, v91
	global_load_dwordx2 v[36:37], v30, s[10:11]
	global_load_dwordx2 v[38:39], v31, s[10:11]
	v_mul_lo_u16_e32 v30, 7, v93
	v_or_b32_e32 v62, 64, v100
	v_sub_u16_e32 v92, v89, v32
	v_sub_u16_e32 v94, v86, v30
	v_mul_lo_u16_e32 v60, 0x93, v62
	v_lshlrev_b32_sdwa v40, v58, v92 dst_sel:DWORD dst_unused:UNUSED_PAD src0_sel:DWORD src1_sel:BYTE_0
	v_lshlrev_b32_sdwa v30, v58, v94 dst_sel:DWORD dst_unused:UNUSED_PAD src0_sel:DWORD src1_sel:BYTE_0
	v_lshrrev_b16_e32 v95, 10, v60
	global_load_dwordx2 v[34:35], v40, s[10:11]
	global_load_dwordx2 v[32:33], v30, s[10:11]
	v_mul_lo_u16_e32 v30, 7, v95
	v_sub_u16_e32 v96, v62, v30
	v_lshlrev_b32_sdwa v30, v58, v96 dst_sel:DWORD dst_unused:UNUSED_PAD src0_sel:DWORD src1_sel:BYTE_0
	global_load_dwordx2 v[42:43], v30, s[10:11]
	v_mul_lo_u16_e32 v30, 7, v97
	v_sub_u16_e32 v98, v74, v30
	v_lshlrev_b32_sdwa v30, v58, v98 dst_sel:DWORD dst_unused:UNUSED_PAD src0_sel:DWORD src1_sel:BYTE_0
	;; [unrolled: 4-line block ×3, first 2 shown]
	global_load_dwordx2 v[30:31], v30, s[10:11]
	ds_read2_b64 v[44:47], v102 offset0:112 offset1:128
	ds_read2_b64 v[48:51], v102 offset0:144 offset1:160
	ds_read_b64 v[72:73], v102 offset:1664
	v_mad_legacy_u16 v61, v61, 14, v63
	v_and_b32_e32 v61, 0xff, v61
	v_add_lshl_u32 v113, v88, v61, 3
	v_mad_legacy_u16 v61, v85, 14, v87
	v_and_b32_e32 v61, 0xff, v61
	v_add_lshl_u32 v112, v88, v61, 3
	v_lshrrev_b16_e32 v63, 9, v84
	v_lshrrev_b16_e32 v61, 9, v90
	;; [unrolled: 1-line block ×5, first 2 shown]
	s_waitcnt vmcnt(6) lgkmcnt(2)
	v_mul_f32_e32 v52, v45, v37
	v_fma_f32 v82, v44, v36, -v52
	v_mul_f32_e32 v83, v44, v37
	s_waitcnt vmcnt(5)
	v_mul_f32_e32 v44, v47, v39
	v_fma_f32 v52, v46, v38, -v44
	v_mul_f32_e32 v53, v46, v39
	v_fmac_f32_e32 v83, v45, v36
	v_fmac_f32_e32 v53, v47, v38
	s_waitcnt vmcnt(4) lgkmcnt(1)
	v_mul_f32_e32 v44, v49, v35
	v_fma_f32 v54, v48, v34, -v44
	ds_read2_b64 v[44:47], v102 offset0:176 offset1:192
	v_mul_f32_e32 v55, v48, v35
	s_waitcnt vmcnt(3)
	v_mul_f32_e32 v48, v51, v33
	v_fma_f32 v56, v50, v32, -v48
	v_mul_f32_e32 v57, v50, v33
	s_waitcnt vmcnt(2) lgkmcnt(0)
	v_mul_f32_e32 v48, v45, v43
	v_fma_f32 v66, v44, v42, -v48
	v_mul_f32_e32 v67, v44, v43
	s_waitcnt vmcnt(1)
	v_mul_f32_e32 v44, v47, v41
	v_mul_f32_e32 v81, v46, v41
	v_fmac_f32_e32 v67, v45, v42
	v_fma_f32 v80, v46, v40, -v44
	v_fmac_f32_e32 v81, v47, v40
	ds_read2_b64 v[44:47], v102 offset0:48 offset1:64
	v_fmac_f32_e32 v57, v51, v32
	v_fmac_f32_e32 v55, v49, v34
	ds_read2_b64 v[48:51], v102 offset0:16 offset1:32
	s_waitcnt vmcnt(0)
	v_mul_f32_e32 v109, v72, v31
	s_waitcnt lgkmcnt(1)
	v_sub_f32_e32 v56, v44, v56
	v_sub_f32_e32 v57, v45, v57
	;; [unrolled: 1-line block ×4, first 2 shown]
	v_fma_f32 v68, v44, 2.0, -v56
	v_fma_f32 v69, v45, 2.0, -v57
	;; [unrolled: 1-line block ×4, first 2 shown]
	ds_read2_b64 v[44:47], v102 offset0:80 offset1:96
	ds_read_b64 v[78:79], v103
	s_waitcnt lgkmcnt(2)
	v_sub_f32_e32 v52, v48, v52
	v_sub_f32_e32 v53, v49, v53
	v_fma_f32 v48, v48, 2.0, -v52
	v_fma_f32 v49, v49, 2.0, -v53
	s_waitcnt lgkmcnt(0)
	v_sub_f32_e32 v82, v78, v82
	v_sub_f32_e32 v83, v79, v83
	v_fma_f32 v78, v78, 2.0, -v82
	v_fma_f32 v79, v79, 2.0, -v83
	s_waitcnt lgkmcnt(0)
	; wave barrier
	ds_write2_b64 v113, v[78:79], v[82:83] offset1:7
	ds_write2_b64 v112, v[48:49], v[52:53] offset1:7
	v_mad_legacy_u16 v48, v91, 14, v92
	v_and_b32_e32 v48, 0xff, v48
	v_add_lshl_u32 v111, v88, v48, 3
	v_mad_legacy_u16 v48, v93, 14, v94
	v_and_b32_e32 v48, 0xff, v48
	v_add_lshl_u32 v110, v88, v48, 3
	v_mul_lo_u16_e32 v48, 14, v95
	v_fmac_f32_e32 v109, v73, v30
	v_add_u32_sdwa v48, v48, v96 dst_sel:DWORD dst_unused:UNUSED_PAD src0_sel:DWORD src1_sel:BYTE_0
	v_mul_f32_e32 v108, v73, v31
	v_sub_f32_e32 v73, v45, v81
	v_sub_f32_e32 v81, v47, v109
	v_add_lshl_u32 v109, v88, v48, 3
	v_mul_lo_u16_e32 v48, 14, v97
	v_sub_f32_e32 v54, v50, v54
	v_sub_f32_e32 v55, v51, v55
	v_fma_f32 v108, v72, v30, -v108
	v_sub_f32_e32 v72, v44, v80
	v_add_u32_sdwa v48, v48, v98 dst_sel:DWORD dst_unused:UNUSED_PAD src0_sel:DWORD src1_sel:BYTE_0
	v_fma_f32 v50, v50, 2.0, -v54
	v_fma_f32 v51, v51, 2.0, -v55
	v_sub_f32_e32 v80, v46, v108
	v_fma_f32 v44, v44, 2.0, -v72
	v_fma_f32 v45, v45, 2.0, -v73
	v_add_lshl_u32 v108, v88, v48, 3
	ds_write2_b64 v111, v[50:51], v[54:55] offset1:7
	ds_write2_b64 v110, v[68:69], v[56:57] offset1:7
	;; [unrolled: 1-line block ×4, first 2 shown]
	v_mul_lo_u16_e32 v44, 14, v99
	v_add_u32_sdwa v44, v44, v107 dst_sel:DWORD dst_unused:UNUSED_PAD src0_sel:DWORD src1_sel:BYTE_0
	v_add_lshl_u32 v107, v88, v44, 3
	v_add_co_u32_e32 v44, vcc, -14, v100
	v_addc_co_u32_e64 v45, s[12:13], 0, -1, vcc
	v_cmp_gt_u32_e32 vcc, 14, v100
	v_cndmask_b32_e64 v73, v45, 0, vcc
	v_cndmask_b32_e32 v72, v44, v100, vcc
	v_lshlrev_b64 v[44:45], 3, v[72:73]
	v_mov_b32_e32 v78, s11
	v_add_co_u32_e32 v44, vcc, s10, v44
	v_fma_f32 v46, v46, 2.0, -v80
	v_fma_f32 v47, v47, 2.0, -v81
	v_addc_co_u32_e32 v45, vcc, v78, v45, vcc
	ds_write2_b64 v107, v[46:47], v[80:81] offset1:7
	s_waitcnt lgkmcnt(0)
	; wave barrier
	s_waitcnt lgkmcnt(0)
	global_load_dwordx2 v[48:49], v[44:45], off offset:56
	v_mul_lo_u16_e32 v44, 14, v63
	v_mul_lo_u16_e32 v46, 14, v61
	v_sub_u16_e32 v73, v64, v44
	v_lshlrev_b32_sdwa v44, v58, v73 dst_sel:DWORD dst_unused:UNUSED_PAD src0_sel:DWORD src1_sel:BYTE_0
	v_sub_u16_e32 v85, v89, v46
	global_load_dwordx2 v[52:53], v44, s[10:11] offset:56
	v_lshlrev_b32_sdwa v44, v58, v85 dst_sel:DWORD dst_unused:UNUSED_PAD src0_sel:DWORD src1_sel:BYTE_0
	global_load_dwordx2 v[50:51], v44, s[10:11] offset:56
	v_mul_lo_u16_e32 v44, 14, v87
	v_sub_u16_e32 v99, v86, v44
	v_lshlrev_b32_sdwa v44, v58, v99 dst_sel:DWORD dst_unused:UNUSED_PAD src0_sel:DWORD src1_sel:BYTE_0
	global_load_dwordx2 v[46:47], v44, s[10:11] offset:56
	v_mul_lo_u16_e32 v44, 14, v123
	v_sub_u16_e32 v124, v62, v44
	;; [unrolled: 4-line block ×4, first 2 shown]
	v_lshlrev_b32_sdwa v44, v58, v128 dst_sel:DWORD dst_unused:UNUSED_PAD src0_sel:DWORD src1_sel:BYTE_0
	global_load_dwordx2 v[44:45], v44, s[10:11] offset:56
	ds_read2_b64 v[66:69], v102 offset0:112 offset1:128
	ds_read2_b64 v[79:82], v102 offset0:144 offset1:160
	ds_read_b64 v[95:96], v102 offset:1664
	v_cmp_lt_u32_e32 vcc, 13, v100
	v_mad_legacy_u16 v61, v61, 28, v85
	v_and_b32_e32 v61, 0xff, v61
	v_mad_legacy_u16 v63, v63, 28, v73
	v_and_b32_e32 v63, 0xff, v63
	v_sub_u16_e32 v70, v70, v71
	v_and_b32_e32 v132, 0xff, v70
	v_lshlrev_b32_e32 v70, 3, v132
	s_waitcnt vmcnt(6) lgkmcnt(2)
	v_mul_f32_e32 v76, v67, v49
	v_fma_f32 v116, v66, v48, -v76
	v_mul_f32_e32 v117, v66, v49
	v_fmac_f32_e32 v117, v67, v48
	s_waitcnt vmcnt(5)
	v_mul_f32_e32 v66, v69, v53
	v_fma_f32 v76, v68, v52, -v66
	v_mul_f32_e32 v77, v68, v53
	s_waitcnt vmcnt(4) lgkmcnt(1)
	v_mul_f32_e32 v66, v80, v51
	v_fmac_f32_e32 v77, v69, v52
	v_fma_f32 v83, v79, v50, -v66
	ds_read2_b64 v[66:69], v102 offset0:176 offset1:192
	v_mul_f32_e32 v84, v79, v51
	s_waitcnt vmcnt(3)
	v_mul_f32_e32 v79, v82, v47
	v_fma_f32 v89, v81, v46, -v79
	v_mul_f32_e32 v90, v81, v47
	s_waitcnt vmcnt(2) lgkmcnt(0)
	v_mul_f32_e32 v79, v67, v57
	v_fma_f32 v91, v66, v56, -v79
	v_mul_f32_e32 v92, v66, v57
	s_waitcnt vmcnt(1)
	v_mul_f32_e32 v66, v69, v55
	v_mul_f32_e32 v119, v68, v55
	v_fmac_f32_e32 v92, v67, v56
	v_fma_f32 v118, v68, v54, -v66
	v_fmac_f32_e32 v119, v69, v54
	ds_read2_b64 v[66:69], v102 offset0:48 offset1:64
	v_fmac_f32_e32 v90, v82, v46
	v_fmac_f32_e32 v84, v80, v50
	ds_read2_b64 v[79:82], v102 offset0:16 offset1:32
	s_waitcnt vmcnt(0)
	v_mul_f32_e32 v120, v96, v45
	s_waitcnt lgkmcnt(1)
	v_sub_f32_e32 v89, v66, v89
	v_sub_f32_e32 v90, v67, v90
	;; [unrolled: 1-line block ×4, first 2 shown]
	v_fma_f32 v93, v66, 2.0, -v89
	v_fma_f32 v94, v67, 2.0, -v90
	;; [unrolled: 1-line block ×4, first 2 shown]
	ds_read2_b64 v[66:69], v102 offset0:80 offset1:96
	ds_read_b64 v[114:115], v103
	v_fma_f32 v120, v95, v44, -v120
	v_mul_f32_e32 v122, v95, v45
	s_waitcnt lgkmcnt(0)
	v_sub_f32_e32 v95, v66, v118
	v_cndmask_b32_e64 v118, 0, 28, vcc
	v_sub_f32_e32 v116, v114, v116
	v_sub_f32_e32 v117, v115, v117
	v_add_u32_e32 v72, v72, v118
	v_add_lshl_u32 v118, v88, v61, 3
	v_mad_legacy_u16 v61, v87, 28, v99
	v_sub_f32_e32 v121, v68, v120
	v_fma_f32 v114, v114, 2.0, -v116
	v_fma_f32 v115, v115, 2.0, -v117
	v_add_lshl_u32 v120, v88, v72, 3
	v_and_b32_e32 v61, 0xff, v61
	; wave barrier
	ds_write2_b64 v120, v[114:115], v[116:117] offset1:14
	v_add_lshl_u32 v117, v88, v61, 3
	v_mul_lo_u16_e32 v61, 28, v123
	v_add_u32_sdwa v61, v61, v124 dst_sel:DWORD dst_unused:UNUSED_PAD src0_sel:DWORD src1_sel:BYTE_0
	v_add_lshl_u32 v116, v88, v61, 3
	v_mul_lo_u16_e32 v61, 28, v125
	v_add_u32_sdwa v61, v61, v126 dst_sel:DWORD dst_unused:UNUSED_PAD src0_sel:DWORD src1_sel:BYTE_0
	;; [unrolled: 3-line block ×3, first 2 shown]
	v_fmac_f32_e32 v122, v96, v44
	v_add_lshl_u32 v114, v88, v61, 3
	v_add_co_u32_e32 v61, vcc, -12, v100
	v_sub_f32_e32 v76, v79, v76
	v_sub_f32_e32 v77, v80, v77
	;; [unrolled: 1-line block ×6, first 2 shown]
	v_add_lshl_u32 v119, v88, v63, 3
	v_addc_co_u32_e64 v63, s[12:13], 0, -1, vcc
	v_cmp_gt_u64_e32 vcc, 28, v[64:65]
	v_fma_f32 v79, v79, 2.0, -v76
	v_fma_f32 v80, v80, 2.0, -v77
	;; [unrolled: 1-line block ×8, first 2 shown]
	ds_write2_b64 v119, v[79:80], v[76:77] offset1:14
	ds_write2_b64 v118, v[81:82], v[83:84] offset1:14
	;; [unrolled: 1-line block ×6, first 2 shown]
	v_cndmask_b32_e32 v83, v61, v64, vcc
	v_cndmask_b32_e64 v84, v63, 0, vcc
	s_waitcnt lgkmcnt(0)
	; wave barrier
	s_waitcnt lgkmcnt(0)
	global_load_dwordx2 v[72:73], v104, s[10:11] offset:168
	v_lshlrev_b64 v[66:67], 3, v[83:84]
	v_lshrrev_b16_e32 v87, 10, v59
	v_add_co_u32_e32 v66, vcc, s10, v66
	v_addc_co_u32_e32 v67, vcc, v78, v67, vcc
	v_mul_lo_u16_e32 v59, 28, v87
	global_load_dwordx2 v[66:67], v[66:67], off offset:168
	v_sub_u16_e32 v99, v86, v59
	v_mul_lo_u16_e32 v63, 28, v60
	global_load_dwordx2 v[60:61], v104, s[10:11] offset:200
	v_lshlrev_b32_sdwa v59, v58, v99 dst_sel:DWORD dst_unused:UNUSED_PAD src0_sel:DWORD src1_sel:BYTE_0
	global_load_dwordx2 v[68:69], v59, s[10:11] offset:168
	v_sub_u16_e32 v59, v62, v63
	v_and_b32_e32 v121, 0xff, v59
	v_lshlrev_b32_e32 v59, 3, v121
	global_load_dwordx2 v[62:63], v59, s[10:11] offset:168
	v_mul_lo_u16_e32 v59, 28, v130
	v_sub_u16_e32 v131, v74, v59
	v_lshlrev_b32_sdwa v58, v58, v131 dst_sel:DWORD dst_unused:UNUSED_PAD src0_sel:DWORD src1_sel:BYTE_0
	global_load_dwordx2 v[58:59], v58, s[10:11] offset:168
	ds_read2_b64 v[74:77], v102 offset0:112 offset1:128
	global_load_dwordx2 v[70:71], v70, s[10:11] offset:168
	ds_read_b64 v[97:98], v102 offset:1664
	v_cmp_lt_u64_e32 vcc, 27, v[64:65]
	v_add_lshl_u32 v121, v88, v121, 3
	v_cndmask_b32_e64 v64, 0, 56, vcc
	v_add_u32_e32 v64, v64, v83
	s_waitcnt vmcnt(6) lgkmcnt(1)
	v_mul_f32_e32 v79, v75, v73
	v_fma_f32 v128, v74, v72, -v79
	ds_read2_b64 v[79:82], v102 offset0:144 offset1:160
	v_mul_f32_e32 v129, v74, v73
	v_fmac_f32_e32 v129, v75, v72
	s_waitcnt vmcnt(5)
	v_mul_f32_e32 v74, v77, v67
	v_fma_f32 v84, v76, v66, -v74
	v_mul_f32_e32 v85, v76, v67
	s_waitcnt vmcnt(4) lgkmcnt(0)
	v_mul_f32_e32 v74, v80, v61
	v_fmac_f32_e32 v85, v77, v66
	v_fma_f32 v89, v79, v60, -v74
	ds_read2_b64 v[74:77], v102 offset0:176 offset1:192
	v_mul_f32_e32 v90, v79, v61
	s_waitcnt vmcnt(3)
	v_mul_f32_e32 v79, v82, v69
	v_fma_f32 v91, v81, v68, -v79
	v_mul_f32_e32 v92, v81, v69
	s_waitcnt vmcnt(2) lgkmcnt(0)
	v_mul_f32_e32 v79, v75, v63
	v_fma_f32 v93, v74, v62, -v79
	v_mul_f32_e32 v94, v74, v63
	s_waitcnt vmcnt(1)
	v_mul_f32_e32 v74, v77, v59
	v_mul_f32_e32 v127, v76, v59
	v_fmac_f32_e32 v94, v75, v62
	v_fma_f32 v126, v76, v58, -v74
	v_fmac_f32_e32 v127, v77, v58
	ds_read2_b64 v[74:77], v102 offset0:48 offset1:64
	v_fmac_f32_e32 v92, v82, v68
	v_fmac_f32_e32 v90, v80, v60
	ds_read2_b64 v[79:82], v102 offset0:16 offset1:32
	s_waitcnt vmcnt(0)
	v_mul_f32_e32 v133, v98, v71
	s_waitcnt lgkmcnt(1)
	v_sub_f32_e32 v91, v74, v91
	v_sub_f32_e32 v92, v75, v92
	;; [unrolled: 1-line block ×4, first 2 shown]
	v_fma_f32 v95, v74, 2.0, -v91
	v_fma_f32 v96, v75, 2.0, -v92
	;; [unrolled: 1-line block ×4, first 2 shown]
	ds_read2_b64 v[74:77], v102 offset0:80 offset1:96
	ds_read_b64 v[124:125], v103
	s_waitcnt lgkmcnt(0)
	; wave barrier
	s_waitcnt lgkmcnt(0)
	v_mul_f32_e32 v134, v97, v71
	v_sub_f32_e32 v84, v79, v84
	v_sub_f32_e32 v128, v124, v128
	;; [unrolled: 1-line block ×3, first 2 shown]
	v_fma_f32 v124, v124, 2.0, -v128
	v_fma_f32 v125, v125, 2.0, -v129
	ds_write2_b64 v103, v[124:125], v[128:129] offset1:28
	v_add_lshl_u32 v125, v88, v64, 3
	v_mad_legacy_u16 v64, v87, 56, v99
	v_and_b32_e32 v64, 0xff, v64
	v_sub_f32_e32 v85, v80, v85
	v_fma_f32 v133, v97, v70, -v133
	v_fmac_f32_e32 v134, v98, v70
	v_add_lshl_u32 v124, v88, v64, 3
	v_mul_lo_u16_e32 v64, 56, v130
	v_sub_f32_e32 v89, v81, v89
	v_sub_f32_e32 v90, v82, v90
	v_fma_f32 v79, v79, 2.0, -v84
	v_fma_f32 v80, v80, 2.0, -v85
	v_sub_f32_e32 v97, v74, v126
	v_sub_f32_e32 v98, v75, v127
	;; [unrolled: 1-line block ×4, first 2 shown]
	v_add_u32_sdwa v64, v64, v131 dst_sel:DWORD dst_unused:UNUSED_PAD src0_sel:DWORD src1_sel:BYTE_0
	v_fma_f32 v81, v81, 2.0, -v89
	v_fma_f32 v82, v82, 2.0, -v90
	;; [unrolled: 1-line block ×6, first 2 shown]
	ds_write2_b64 v125, v[79:80], v[84:85] offset1:28
	ds_write2_b64 v103, v[81:82], v[89:90] offset0:60 offset1:88
	ds_write2_b64 v124, v[95:96], v[91:92] offset1:28
	ds_write2_b64 v121, v[122:123], v[93:94] offset0:112 offset1:140
	v_add_lshl_u32 v122, v88, v64, 3
	v_add_lshl_u32 v123, v88, v132, 3
	ds_write2_b64 v122, v[74:75], v[97:98] offset1:28
	ds_write2_b64 v123, v[76:77], v[126:127] offset0:168 offset1:196
	s_waitcnt lgkmcnt(0)
	; wave barrier
	s_waitcnt lgkmcnt(0)
	global_load_dwordx2 v[74:75], v104, s[10:11] offset:392
	global_load_dwordx2 v[76:77], v104, s[10:11] offset:520
	v_mov_b32_e32 v87, v65
	v_add_co_u32_e32 v64, vcc, -8, v100
	global_load_dwordx2 v[84:85], v104, s[10:11] offset:648
	v_addc_co_u32_e64 v65, s[12:13], 0, -1, vcc
	v_cmp_gt_u64_e32 vcc, 56, v[86:87]
	v_cndmask_b32_e32 v97, v64, v86, vcc
	v_cndmask_b32_e64 v98, v65, 0, vcc
	v_lshlrev_b64 v[64:65], 3, v[97:98]
	v_add_co_u32_e32 v89, vcc, s10, v64
	v_addc_co_u32_e32 v90, vcc, v78, v65, vcc
	global_load_dwordx2 v[82:83], v[89:90], off offset:392
	global_load_dwordx2 v[80:81], v104, s[10:11] offset:456
	global_load_dwordx2 v[78:79], v104, s[10:11] offset:584
	;; [unrolled: 1-line block ×3, first 2 shown]
	ds_read2_b64 v[89:92], v102 offset0:112 offset1:128
	ds_read_b64 v[134:135], v102 offset:1664
	v_cmp_lt_u64_e32 vcc, 55, v[86:87]
	s_waitcnt vmcnt(6) lgkmcnt(1)
	v_mul_f32_e32 v93, v90, v75
	v_fma_f32 v142, v89, v74, -v93
	ds_read2_b64 v[93:96], v102 offset0:144 offset1:160
	v_mul_f32_e32 v143, v89, v75
	s_waitcnt vmcnt(5)
	v_mul_f32_e32 v89, v92, v77
	v_fma_f32 v98, v91, v76, -v89
	v_mul_f32_e32 v99, v91, v77
	s_waitcnt vmcnt(4) lgkmcnt(0)
	v_mul_f32_e32 v89, v94, v85
	v_fmac_f32_e32 v143, v90, v74
	v_fmac_f32_e32 v99, v92, v76
	v_fma_f32 v126, v93, v84, -v89
	ds_read2_b64 v[89:92], v102 offset0:176 offset1:192
	v_mul_f32_e32 v127, v93, v85
	v_fmac_f32_e32 v127, v94, v84
	s_waitcnt vmcnt(3)
	v_mul_f32_e32 v93, v96, v83
	v_fma_f32 v128, v95, v82, -v93
	s_waitcnt vmcnt(2) lgkmcnt(0)
	v_mul_f32_e32 v93, v90, v81
	v_fma_f32 v130, v89, v80, -v93
	v_mul_f32_e32 v131, v89, v81
	s_waitcnt vmcnt(1)
	v_mul_f32_e32 v89, v92, v79
	v_mul_f32_e32 v141, v91, v79
	v_fmac_f32_e32 v131, v90, v80
	v_fma_f32 v140, v91, v78, -v89
	v_fmac_f32_e32 v141, v92, v78
	ds_read2_b64 v[89:92], v102 offset0:48 offset1:64
	v_mul_f32_e32 v129, v95, v83
	v_fmac_f32_e32 v129, v96, v82
	ds_read2_b64 v[93:96], v102 offset0:16 offset1:32
	s_waitcnt vmcnt(0)
	v_mul_f32_e32 v144, v135, v65
	s_waitcnt lgkmcnt(1)
	v_sub_f32_e32 v128, v89, v128
	v_sub_f32_e32 v129, v90, v129
	;; [unrolled: 1-line block ×4, first 2 shown]
	v_fma_f32 v132, v89, 2.0, -v128
	v_fma_f32 v133, v90, 2.0, -v129
	v_fma_f32 v136, v91, 2.0, -v130
	v_fma_f32 v137, v92, 2.0, -v131
	ds_read2_b64 v[89:92], v102 offset0:80 offset1:96
	ds_read_b64 v[138:139], v103
	s_waitcnt lgkmcnt(2)
	v_sub_f32_e32 v98, v93, v98
	v_sub_f32_e32 v99, v94, v99
	;; [unrolled: 1-line block ×4, first 2 shown]
	s_waitcnt lgkmcnt(0)
	v_sub_f32_e32 v142, v138, v142
	v_sub_f32_e32 v143, v139, v143
	v_fma_f32 v93, v93, 2.0, -v98
	v_fma_f32 v138, v138, 2.0, -v142
	;; [unrolled: 1-line block ×6, first 2 shown]
	v_mul_f32_e32 v145, v134, v65
	s_waitcnt lgkmcnt(0)
	; wave barrier
	ds_write2_b64 v103, v[138:139], v[142:143] offset1:56
	ds_write_b64 v102, v[93:94] offset:128
	ds_write_b64 v103, v[98:99] offset:576
	;; [unrolled: 1-line block ×4, first 2 shown]
	v_mov_b32_e32 v93, 0x70
	v_fma_f32 v144, v134, v64, -v144
	v_fmac_f32_e32 v145, v135, v64
	v_cndmask_b32_e32 v86, 0, v93, vcc
	v_sub_f32_e32 v134, v89, v140
	v_sub_f32_e32 v135, v90, v141
	;; [unrolled: 1-line block ×4, first 2 shown]
	v_add_u32_e32 v86, v86, v97
	v_fma_f32 v89, v89, 2.0, -v134
	v_fma_f32 v90, v90, 2.0, -v135
	;; [unrolled: 1-line block ×4, first 2 shown]
	v_add_lshl_u32 v126, v88, v86, 3
	ds_write2_b64 v126, v[132:133], v[128:129] offset1:56
	ds_write2_b64 v103, v[136:137], v[89:90] offset0:120 offset1:136
	ds_write2_b64 v103, v[91:92], v[130:131] offset0:152 offset1:176
	;; [unrolled: 1-line block ×3, first 2 shown]
	s_waitcnt lgkmcnt(0)
	; wave barrier
	s_waitcnt lgkmcnt(0)
	global_load_dwordx2 v[92:93], v104, s[10:11] offset:840
	global_load_dwordx2 v[90:91], v104, s[10:11] offset:968
	;; [unrolled: 1-line block ×7, first 2 shown]
	ds_read2_b64 v[127:130], v102 offset0:112 offset1:128
	ds_read_b64 v[145:146], v102 offset:1664
	s_waitcnt vmcnt(6) lgkmcnt(1)
	v_mul_f32_e32 v131, v128, v93
	v_fma_f32 v153, v127, v92, -v131
	ds_read2_b64 v[131:134], v102 offset0:144 offset1:160
	v_mul_f32_e32 v154, v127, v93
	s_waitcnt vmcnt(5)
	v_mul_f32_e32 v127, v130, v91
	v_fma_f32 v135, v129, v90, -v127
	v_mul_f32_e32 v136, v129, v91
	s_waitcnt vmcnt(4) lgkmcnt(0)
	v_mul_f32_e32 v127, v132, v89
	v_fmac_f32_e32 v154, v128, v92
	v_fmac_f32_e32 v136, v130, v90
	v_fma_f32 v137, v131, v88, -v127
	ds_read2_b64 v[127:130], v102 offset0:176 offset1:192
	v_mul_f32_e32 v138, v131, v89
	s_waitcnt vmcnt(3)
	v_mul_f32_e32 v131, v134, v87
	v_fma_f32 v139, v133, v86, -v131
	v_mul_f32_e32 v140, v133, v87
	s_waitcnt vmcnt(2) lgkmcnt(0)
	v_mul_f32_e32 v131, v128, v99
	v_fma_f32 v141, v127, v98, -v131
	v_mul_f32_e32 v142, v127, v99
	s_waitcnt vmcnt(1)
	v_mul_f32_e32 v127, v130, v97
	v_mul_f32_e32 v152, v129, v97
	v_fmac_f32_e32 v142, v128, v98
	v_fma_f32 v151, v129, v96, -v127
	v_fmac_f32_e32 v152, v130, v96
	ds_read2_b64 v[127:130], v102 offset0:48 offset1:64
	v_fmac_f32_e32 v140, v134, v86
	v_fmac_f32_e32 v138, v132, v88
	ds_read2_b64 v[131:134], v102 offset0:16 offset1:32
	s_waitcnt vmcnt(0)
	v_mul_f32_e32 v155, v146, v95
	s_waitcnt lgkmcnt(1)
	v_sub_f32_e32 v139, v127, v139
	v_sub_f32_e32 v140, v128, v140
	;; [unrolled: 1-line block ×4, first 2 shown]
	v_fma_f32 v143, v127, 2.0, -v139
	v_fma_f32 v144, v128, 2.0, -v140
	;; [unrolled: 1-line block ×4, first 2 shown]
	ds_read2_b64 v[127:130], v102 offset0:80 offset1:96
	ds_read_b64 v[149:150], v103
	v_mul_f32_e32 v156, v145, v95
	s_waitcnt lgkmcnt(2)
	v_sub_f32_e32 v135, v131, v135
	v_sub_f32_e32 v136, v132, v136
	;; [unrolled: 1-line block ×4, first 2 shown]
	v_fma_f32 v155, v145, v94, -v155
	v_fmac_f32_e32 v156, v146, v94
	s_waitcnt lgkmcnt(1)
	v_sub_f32_e32 v145, v127, v151
	v_sub_f32_e32 v146, v128, v152
	s_waitcnt lgkmcnt(0)
	v_sub_f32_e32 v153, v149, v153
	v_sub_f32_e32 v154, v150, v154
	v_fma_f32 v131, v131, 2.0, -v135
	v_fma_f32 v132, v132, 2.0, -v136
	;; [unrolled: 1-line block ×4, first 2 shown]
	v_sub_f32_e32 v151, v129, v155
	v_sub_f32_e32 v152, v130, v156
	v_fma_f32 v127, v127, 2.0, -v145
	v_fma_f32 v128, v128, 2.0, -v146
	;; [unrolled: 1-line block ×6, first 2 shown]
	ds_write_b64 v103, v[149:150]
	ds_write2_b64 v102, v[153:154], v[135:136] offset0:112 offset1:128
	ds_write2_b64 v102, v[131:132], v[133:134] offset0:16 offset1:32
	;; [unrolled: 1-line block ×6, first 2 shown]
	ds_write_b64 v102, v[151:152] offset:1664
	s_waitcnt lgkmcnt(0)
	; wave barrier
	s_waitcnt lgkmcnt(0)
	global_load_dwordx2 v[127:128], v104, s[8:9] offset:1792
	global_load_dwordx2 v[131:132], v104, s[6:7] offset:256
	;; [unrolled: 1-line block ×14, first 2 shown]
	ds_read_b64 v[129:130], v103
	s_mov_b32 s6, 0xbf5ff5aa
	s_waitcnt vmcnt(13) lgkmcnt(0)
	v_mul_f32_e32 v104, v130, v128
	v_mul_f32_e32 v158, v129, v128
	v_fma_f32 v157, v129, v127, -v104
	v_fmac_f32_e32 v158, v130, v127
	ds_write_b64 v103, v[157:158]
	ds_read2_b64 v[127:130], v102 offset0:16 offset1:32
	s_waitcnt vmcnt(12) lgkmcnt(0)
	v_mul_f32_e32 v104, v130, v132
	v_mul_f32_e32 v158, v129, v132
	v_fma_f32 v157, v129, v131, -v104
	v_fmac_f32_e32 v158, v130, v131
	ds_read2_b64 v[129:132], v102 offset0:48 offset1:64
	s_waitcnt vmcnt(9)
	v_mul_f32_e32 v104, v128, v138
	v_fma_f32 v159, v127, v137, -v104
	v_mul_f32_e32 v160, v127, v138
	v_fmac_f32_e32 v160, v128, v137
	s_waitcnt lgkmcnt(0)
	v_mul_f32_e32 v104, v132, v134
	v_mul_f32_e32 v138, v131, v134
	v_fma_f32 v137, v131, v133, -v104
	v_fmac_f32_e32 v138, v132, v133
	ds_read2_b64 v[131:134], v102 offset0:80 offset1:96
	v_mul_f32_e32 v104, v130, v136
	v_mul_f32_e32 v162, v129, v136
	v_fma_f32 v161, v129, v135, -v104
	v_fmac_f32_e32 v162, v130, v135
	ds_read2_b64 v[127:130], v102 offset0:112 offset1:128
	s_waitcnt vmcnt(8) lgkmcnt(1)
	v_mul_f32_e32 v104, v134, v140
	v_fma_f32 v135, v133, v139, -v104
	v_mul_f32_e32 v136, v133, v140
	s_waitcnt vmcnt(5)
	v_mul_f32_e32 v104, v132, v146
	v_fmac_f32_e32 v136, v134, v139
	v_fma_f32 v139, v131, v145, -v104
	v_mul_f32_e32 v140, v131, v146
	s_waitcnt lgkmcnt(0)
	v_mul_f32_e32 v104, v130, v144
	v_mul_f32_e32 v146, v129, v144
	v_fmac_f32_e32 v140, v132, v145
	v_fma_f32 v145, v129, v143, -v104
	v_fmac_f32_e32 v146, v130, v143
	ds_read2_b64 v[129:132], v102 offset0:144 offset1:160
	v_mul_f32_e32 v104, v128, v142
	v_mul_f32_e32 v144, v127, v142
	v_fma_f32 v143, v127, v141, -v104
	v_fmac_f32_e32 v144, v128, v141
	s_waitcnt vmcnt(4) lgkmcnt(0)
	v_mul_f32_e32 v104, v132, v148
	v_mul_f32_e32 v128, v131, v148
	v_fma_f32 v127, v131, v147, -v104
	v_fmac_f32_e32 v128, v132, v147
	ds_read2_b64 v[131:134], v102 offset0:176 offset1:192
	s_waitcnt vmcnt(1)
	v_mul_f32_e32 v104, v130, v154
	v_mul_f32_e32 v142, v129, v154
	v_fma_f32 v141, v129, v153, -v104
	v_fmac_f32_e32 v142, v130, v153
	s_waitcnt lgkmcnt(0)
	v_mul_f32_e32 v104, v134, v152
	v_mul_f32_e32 v130, v133, v152
	v_fma_f32 v129, v133, v151, -v104
	v_fmac_f32_e32 v130, v134, v151
	v_mul_f32_e32 v104, v132, v150
	v_mul_f32_e32 v134, v131, v150
	ds_write2_b64 v102, v[159:160], v[157:158] offset0:16 offset1:32
	ds_write2_b64 v102, v[161:162], v[137:138] offset0:48 offset1:64
	v_fma_f32 v133, v131, v149, -v104
	v_fmac_f32_e32 v134, v132, v149
	ds_read_b64 v[131:132], v102 offset:1664
	ds_write2_b64 v102, v[139:140], v[135:136] offset0:80 offset1:96
	ds_write2_b64 v102, v[143:144], v[145:146] offset0:112 offset1:128
	;; [unrolled: 1-line block ×4, first 2 shown]
	s_waitcnt vmcnt(0) lgkmcnt(4)
	v_mul_f32_e32 v104, v132, v156
	v_mul_f32_e32 v128, v131, v156
	v_fma_f32 v127, v131, v155, -v104
	v_fmac_f32_e32 v128, v132, v155
	ds_write_b64 v102, v[127:128] offset:1664
	s_waitcnt lgkmcnt(0)
	; wave barrier
	s_waitcnt lgkmcnt(0)
	ds_read2_b64 v[127:130], v102 offset0:48 offset1:64
	ds_read_b64 v[135:136], v102 offset:1664
	ds_read2_b64 v[131:134], v102 offset0:144 offset1:160
	ds_read_b64 v[139:140], v103
	s_waitcnt lgkmcnt(2)
	v_add_f32_e32 v104, v127, v135
	v_add_f32_e32 v141, v128, v136
	v_sub_f32_e32 v142, v127, v135
	v_sub_f32_e32 v143, v128, v136
	ds_read2_b64 v[135:138], v102 offset0:112 offset1:128
	s_waitcnt lgkmcnt(2)
	v_add_f32_e32 v144, v129, v133
	v_add_f32_e32 v145, v130, v134
	v_sub_f32_e32 v146, v129, v133
	v_sub_f32_e32 v147, v130, v134
	ds_read2_b64 v[127:130], v102 offset0:80 offset1:96
	;; [unrolled: 6-line block ×4, first 2 shown]
	s_waitcnt lgkmcnt(1)
	v_add_f32_e32 v156, v127, v131
	v_add_f32_e32 v157, v128, v132
	v_sub_f32_e32 v158, v127, v131
	v_add_f32_e32 v127, v156, v104
	s_waitcnt lgkmcnt(0)
	v_add_f32_e32 v131, v137, v133
	v_sub_f32_e32 v159, v128, v132
	v_add_f32_e32 v132, v138, v134
	v_sub_f32_e32 v133, v137, v133
	v_add_f32_e32 v137, v148, v127
	v_add_f32_e32 v127, v157, v141
	v_add_f32_e32 v129, v144, v131
	v_sub_f32_e32 v134, v138, v134
	v_add_f32_e32 v138, v149, v127
	v_add_f32_e32 v127, v135, v137
	;; [unrolled: 1-line block ×8, first 2 shown]
	v_sub_f32_e32 v139, v144, v131
	v_sub_f32_e32 v131, v131, v152
	;; [unrolled: 1-line block ×3, first 2 shown]
	v_add_f32_e32 v152, v154, v146
	v_sub_f32_e32 v144, v145, v132
	v_sub_f32_e32 v132, v132, v153
	;; [unrolled: 1-line block ×6, first 2 shown]
	v_add_f32_e32 v133, v152, v133
	v_add_f32_e32 v152, v155, v147
	v_sub_f32_e32 v160, v155, v147
	v_sub_f32_e32 v155, v134, v155
	v_sub_f32_e32 v147, v147, v134
	v_add_f32_e32 v134, v152, v134
	v_mov_b32_e32 v152, v129
	v_fmac_f32_e32 v152, 0xbf955555, v135
	v_mov_b32_e32 v135, v130
	v_fmac_f32_e32 v135, 0xbf955555, v136
	v_mul_f32_e32 v131, 0x3f4a47b2, v131
	v_mul_f32_e32 v132, 0x3f4a47b2, v132
	;; [unrolled: 1-line block ×4, first 2 shown]
	v_fma_f32 v160, v139, s3, -v131
	v_fmac_f32_e32 v131, 0x3d64c772, v140
	v_fma_f32 v161, v144, s3, -v132
	v_fmac_f32_e32 v132, 0x3d64c772, v145
	;; [unrolled: 2-line block ×4, first 2 shown]
	v_add_f32_e32 v164, v131, v152
	v_add_f32_e32 v165, v132, v135
	v_fmac_f32_e32 v136, 0xbee1c552, v133
	v_fmac_f32_e32 v153, 0xbee1c552, v134
	v_add_f32_e32 v131, v164, v153
	v_sub_f32_e32 v132, v165, v136
	s_waitcnt lgkmcnt(0)
	; wave barrier
	ds_write2_b64 v106, v[129:130], v[131:132] offset1:1
	v_mul_f32_e32 v129, 0x3d64c772, v140
	v_fma_f32 v129, v139, s2, -v129
	v_mul_f32_e32 v130, 0x3d64c772, v145
	v_mul_f32_e32 v139, 0x3f5ff5aa, v146
	;; [unrolled: 1-line block ×3, first 2 shown]
	v_fma_f32 v130, v144, s2, -v130
	v_fmac_f32_e32 v139, 0x3eae86e6, v154
	v_fmac_f32_e32 v140, 0x3eae86e6, v155
	v_add_f32_e32 v144, v129, v152
	v_add_f32_e32 v145, v160, v152
	;; [unrolled: 1-line block ×4, first 2 shown]
	v_fmac_f32_e32 v162, 0xbee1c552, v133
	v_fmac_f32_e32 v139, 0xbee1c552, v133
	;; [unrolled: 1-line block ×4, first 2 shown]
	v_add_f32_e32 v129, v140, v145
	v_sub_f32_e32 v130, v135, v139
	v_sub_f32_e32 v131, v144, v163
	v_add_f32_e32 v132, v162, v146
	ds_write2_b64 v106, v[129:130], v[131:132] offset0:2 offset1:3
	v_add_f32_e32 v129, v163, v144
	v_sub_f32_e32 v130, v146, v162
	v_sub_f32_e32 v131, v145, v140
	v_add_f32_e32 v132, v139, v135
	ds_write2_b64 v106, v[129:130], v[131:132] offset0:4 offset1:5
	v_sub_f32_e32 v129, v164, v153
	v_add_f32_e32 v130, v136, v165
	v_mov_b32_e32 v144, v127
	ds_write_b64 v106, v[129:130] offset:48
	v_sub_f32_e32 v106, v156, v104
	v_sub_f32_e32 v104, v104, v148
	;; [unrolled: 1-line block ×3, first 2 shown]
	v_add_f32_e32 v130, v150, v158
	v_sub_f32_e32 v134, v150, v158
	v_sub_f32_e32 v140, v151, v159
	v_fmac_f32_e32 v144, 0xbf955555, v137
	v_mov_b32_e32 v137, v128
	v_sub_f32_e32 v131, v148, v156
	v_sub_f32_e32 v132, v157, v141
	;; [unrolled: 1-line block ×5, first 2 shown]
	v_add_f32_e32 v139, v130, v142
	v_add_f32_e32 v130, v151, v159
	v_sub_f32_e32 v141, v143, v151
	v_sub_f32_e32 v142, v159, v143
	v_fmac_f32_e32 v137, 0xbf955555, v138
	v_mul_f32_e32 v104, 0x3f4a47b2, v104
	v_mul_f32_e32 v129, 0x3f4a47b2, v129
	;; [unrolled: 1-line block ×4, first 2 shown]
	v_add_f32_e32 v143, v130, v143
	v_fma_f32 v140, v106, s3, -v104
	v_fmac_f32_e32 v104, 0x3d64c772, v131
	v_fma_f32 v145, v132, s3, -v129
	v_fmac_f32_e32 v129, 0x3d64c772, v133
	;; [unrolled: 2-line block ×4, first 2 shown]
	v_add_f32_e32 v104, v104, v144
	v_add_f32_e32 v148, v129, v137
	v_fmac_f32_e32 v134, 0xbee1c552, v139
	v_fmac_f32_e32 v138, 0xbee1c552, v143
	v_add_f32_e32 v129, v104, v138
	v_sub_f32_e32 v130, v148, v134
	ds_write2_b64 v105, v[127:128], v[129:130] offset1:1
	v_mul_f32_e32 v127, 0x3d64c772, v131
	v_fma_f32 v106, v106, s2, -v127
	v_mul_f32_e32 v127, 0x3d64c772, v133
	v_fma_f32 v127, v132, s2, -v127
	v_mul_f32_e32 v131, 0x3f5ff5aa, v136
	v_mul_f32_e32 v132, 0x3f5ff5aa, v142
	v_fmac_f32_e32 v131, 0x3eae86e6, v135
	v_fmac_f32_e32 v132, 0x3eae86e6, v141
	v_add_f32_e32 v106, v106, v144
	v_add_f32_e32 v133, v140, v144
	;; [unrolled: 1-line block ×4, first 2 shown]
	v_fmac_f32_e32 v146, 0xbee1c552, v139
	v_fmac_f32_e32 v131, 0xbee1c552, v139
	v_fmac_f32_e32 v147, 0xbee1c552, v143
	v_fmac_f32_e32 v132, 0xbee1c552, v143
	v_add_f32_e32 v127, v132, v133
	v_sub_f32_e32 v128, v136, v131
	v_sub_f32_e32 v129, v106, v147
	v_add_f32_e32 v130, v146, v135
	ds_write2_b64 v105, v[127:128], v[129:130] offset0:2 offset1:3
	v_add_f32_e32 v127, v147, v106
	v_sub_f32_e32 v128, v135, v146
	v_sub_f32_e32 v129, v133, v132
	v_add_f32_e32 v130, v131, v136
	ds_write2_b64 v105, v[127:128], v[129:130] offset0:4 offset1:5
	v_sub_f32_e32 v127, v104, v138
	v_add_f32_e32 v128, v134, v148
	ds_write_b64 v105, v[127:128] offset:48
	s_waitcnt lgkmcnt(0)
	; wave barrier
	s_waitcnt lgkmcnt(0)
	ds_read2_b64 v[127:130], v102 offset0:112 offset1:128
	ds_read2_b64 v[131:134], v102 offset0:144 offset1:160
	ds_read_b64 v[104:105], v102 offset:1664
	s_mov_b32 s2, 0x92492492
	s_mov_b32 s3, 0x3f724924
	s_waitcnt lgkmcnt(2)
	v_mul_f32_e32 v106, v37, v128
	v_mul_f32_e32 v37, v37, v127
	v_fmac_f32_e32 v106, v36, v127
	v_fma_f32 v128, v36, v128, -v37
	v_mul_f32_e32 v36, v39, v129
	s_waitcnt lgkmcnt(1)
	v_mul_f32_e32 v137, v35, v132
	v_mul_f32_e32 v35, v35, v131
	v_fma_f32 v136, v38, v130, -v36
	v_fmac_f32_e32 v137, v34, v131
	v_fma_f32 v131, v34, v132, -v35
	ds_read2_b64 v[34:37], v102 offset0:176 offset1:192
	v_mul_f32_e32 v132, v33, v134
	v_mul_f32_e32 v33, v33, v133
	v_fmac_f32_e32 v132, v32, v133
	v_fma_f32 v133, v32, v134, -v33
	s_waitcnt lgkmcnt(0)
	v_mul_f32_e32 v32, v43, v34
	v_fma_f32 v138, v42, v35, -v32
	ds_read_b64 v[32:33], v103
	v_mul_f32_e32 v134, v43, v35
	v_mul_f32_e32 v135, v39, v130
	v_fmac_f32_e32 v134, v42, v34
	v_mul_f32_e32 v139, v41, v37
	v_mul_f32_e32 v34, v41, v36
	s_waitcnt lgkmcnt(0)
	v_sub_f32_e32 v127, v32, v106
	v_sub_f32_e32 v128, v33, v128
	v_fmac_f32_e32 v135, v38, v129
	v_fmac_f32_e32 v139, v40, v36
	v_fma_f32 v140, v40, v37, -v34
	v_fma_f32 v129, v32, 2.0, -v127
	v_fma_f32 v130, v33, 2.0, -v128
	ds_read2_b64 v[32:35], v102 offset0:16 offset1:32
	ds_read2_b64 v[36:39], v102 offset0:48 offset1:64
	;; [unrolled: 1-line block ×3, first 2 shown]
	s_waitcnt lgkmcnt(0)
	; wave barrier
	s_waitcnt lgkmcnt(0)
	ds_write2_b64 v113, v[129:130], v[127:128] offset1:7
	v_sub_f32_e32 v127, v32, v135
	v_sub_f32_e32 v128, v33, v136
	v_fma_f32 v32, v32, 2.0, -v127
	v_fma_f32 v33, v33, 2.0, -v128
	ds_write2_b64 v112, v[32:33], v[127:128] offset1:7
	v_sub_f32_e32 v32, v34, v137
	v_sub_f32_e32 v33, v35, v131
	v_fma_f32 v34, v34, 2.0, -v32
	v_fma_f32 v35, v35, 2.0, -v33
	;; [unrolled: 5-line block ×5, first 2 shown]
	ds_write2_b64 v108, v[34:35], v[32:33] offset1:7
	v_mul_f32_e32 v32, v31, v105
	v_mul_f32_e32 v31, v31, v104
	v_fmac_f32_e32 v32, v30, v104
	v_fma_f32 v31, v30, v105, -v31
	v_sub_f32_e32 v30, v42, v32
	v_sub_f32_e32 v31, v43, v31
	v_fma_f32 v32, v42, 2.0, -v30
	v_fma_f32 v33, v43, 2.0, -v31
	ds_write2_b64 v107, v[32:33], v[30:31] offset1:7
	s_waitcnt lgkmcnt(0)
	; wave barrier
	s_waitcnt lgkmcnt(0)
	ds_read2_b64 v[30:33], v102 offset0:112 offset1:128
	ds_read2_b64 v[34:37], v102 offset0:144 offset1:160
	ds_read_b64 v[42:43], v102 offset:1664
	s_waitcnt lgkmcnt(2)
	v_mul_f32_e32 v38, v49, v31
	v_fmac_f32_e32 v38, v48, v30
	v_mul_f32_e32 v30, v49, v30
	v_fma_f32 v39, v48, v31, -v30
	v_mul_f32_e32 v104, v53, v33
	v_mul_f32_e32 v30, v53, v32
	v_fmac_f32_e32 v104, v52, v32
	v_fma_f32 v52, v52, v33, -v30
	s_waitcnt lgkmcnt(1)
	v_mul_f32_e32 v53, v51, v35
	v_mul_f32_e32 v30, v51, v34
	v_fmac_f32_e32 v53, v50, v34
	v_fma_f32 v50, v50, v35, -v30
	ds_read2_b64 v[30:33], v102 offset0:176 offset1:192
	v_mul_f32_e32 v51, v47, v37
	v_mul_f32_e32 v34, v47, v36
	v_fmac_f32_e32 v51, v46, v36
	v_fma_f32 v105, v46, v37, -v34
	s_waitcnt lgkmcnt(0)
	v_mul_f32_e32 v106, v57, v31
	v_fmac_f32_e32 v106, v56, v30
	v_mul_f32_e32 v30, v57, v30
	v_fma_f32 v56, v56, v31, -v30
	ds_read_b64 v[30:31], v103
	v_mul_f32_e32 v57, v55, v33
	v_fmac_f32_e32 v57, v54, v32
	v_mul_f32_e32 v32, v55, v32
	v_fma_f32 v54, v54, v33, -v32
	s_waitcnt lgkmcnt(0)
	v_sub_f32_e32 v46, v30, v38
	v_sub_f32_e32 v47, v31, v39
	v_fma_f32 v48, v30, 2.0, -v46
	v_fma_f32 v49, v31, 2.0, -v47
	ds_read2_b64 v[30:33], v102 offset0:16 offset1:32
	ds_read2_b64 v[34:37], v102 offset0:48 offset1:64
	;; [unrolled: 1-line block ×3, first 2 shown]
	s_waitcnt lgkmcnt(0)
	; wave barrier
	s_waitcnt lgkmcnt(0)
	ds_write2_b64 v120, v[48:49], v[46:47] offset1:14
	v_sub_f32_e32 v46, v30, v104
	v_sub_f32_e32 v47, v31, v52
	v_fma_f32 v30, v30, 2.0, -v46
	v_fma_f32 v31, v31, 2.0, -v47
	ds_write2_b64 v119, v[30:31], v[46:47] offset1:14
	v_sub_f32_e32 v30, v32, v53
	v_sub_f32_e32 v31, v33, v50
	v_fma_f32 v32, v32, 2.0, -v30
	v_fma_f32 v33, v33, 2.0, -v31
	;; [unrolled: 5-line block ×5, first 2 shown]
	ds_write2_b64 v115, v[32:33], v[30:31] offset1:14
	v_mul_f32_e32 v30, v45, v43
	v_mul_f32_e32 v31, v45, v42
	v_fmac_f32_e32 v30, v44, v42
	v_fma_f32 v31, v44, v43, -v31
	v_sub_f32_e32 v30, v40, v30
	v_sub_f32_e32 v31, v41, v31
	v_fma_f32 v32, v40, 2.0, -v30
	v_fma_f32 v33, v41, 2.0, -v31
	ds_write2_b64 v114, v[32:33], v[30:31] offset1:14
	s_waitcnt lgkmcnt(0)
	; wave barrier
	s_waitcnt lgkmcnt(0)
	ds_read2_b64 v[30:33], v102 offset0:112 offset1:128
	ds_read2_b64 v[34:37], v102 offset0:144 offset1:160
	ds_read_b64 v[42:43], v102 offset:1664
	s_waitcnt lgkmcnt(2)
	v_mul_f32_e32 v38, v73, v31
	v_fmac_f32_e32 v38, v72, v30
	v_mul_f32_e32 v30, v73, v30
	v_fma_f32 v39, v72, v31, -v30
	v_mul_f32_e32 v30, v67, v32
	v_mul_f32_e32 v48, v67, v33
	v_fma_f32 v49, v66, v33, -v30
	s_waitcnt lgkmcnt(1)
	v_mul_f32_e32 v30, v61, v34
	v_fmac_f32_e32 v48, v66, v32
	v_fma_f32 v51, v60, v35, -v30
	ds_read2_b64 v[30:33], v102 offset0:176 offset1:192
	v_mul_f32_e32 v50, v61, v35
	v_fmac_f32_e32 v50, v60, v34
	v_mul_f32_e32 v52, v69, v37
	v_mul_f32_e32 v34, v69, v36
	s_waitcnt lgkmcnt(0)
	v_mul_f32_e32 v54, v63, v31
	v_fmac_f32_e32 v54, v62, v30
	v_mul_f32_e32 v30, v63, v30
	v_fma_f32 v55, v62, v31, -v30
	ds_read_b64 v[30:31], v103
	v_mul_f32_e32 v56, v59, v33
	v_fmac_f32_e32 v56, v58, v32
	v_mul_f32_e32 v32, v59, v32
	v_fmac_f32_e32 v52, v68, v36
	s_waitcnt lgkmcnt(0)
	v_sub_f32_e32 v44, v30, v38
	v_sub_f32_e32 v45, v31, v39
	v_fma_f32 v53, v68, v37, -v34
	v_fma_f32 v57, v58, v33, -v32
	v_fma_f32 v46, v30, 2.0, -v44
	v_fma_f32 v47, v31, 2.0, -v45
	ds_read2_b64 v[30:33], v102 offset0:16 offset1:32
	ds_read2_b64 v[34:37], v102 offset0:48 offset1:64
	;; [unrolled: 1-line block ×3, first 2 shown]
	s_waitcnt lgkmcnt(0)
	; wave barrier
	s_waitcnt lgkmcnt(0)
	ds_write2_b64 v103, v[46:47], v[44:45] offset1:28
	v_sub_f32_e32 v44, v30, v48
	v_sub_f32_e32 v45, v31, v49
	v_fma_f32 v30, v30, 2.0, -v44
	v_fma_f32 v31, v31, 2.0, -v45
	ds_write2_b64 v125, v[30:31], v[44:45] offset1:28
	v_sub_f32_e32 v30, v32, v50
	v_sub_f32_e32 v31, v33, v51
	v_fma_f32 v32, v32, 2.0, -v30
	v_fma_f32 v33, v33, 2.0, -v31
	ds_write2_b64 v103, v[32:33], v[30:31] offset0:60 offset1:88
	v_sub_f32_e32 v30, v34, v52
	v_sub_f32_e32 v31, v35, v53
	v_fma_f32 v32, v34, 2.0, -v30
	v_fma_f32 v33, v35, 2.0, -v31
	ds_write2_b64 v124, v[32:33], v[30:31] offset1:28
	v_mul_f32_e32 v44, v71, v43
	v_mul_f32_e32 v30, v71, v42
	v_fmac_f32_e32 v44, v70, v42
	v_fma_f32 v42, v70, v43, -v30
	v_sub_f32_e32 v30, v36, v54
	v_sub_f32_e32 v31, v37, v55
	v_fma_f32 v32, v36, 2.0, -v30
	v_fma_f32 v33, v37, 2.0, -v31
	v_sub_f32_e32 v34, v38, v56
	v_sub_f32_e32 v35, v39, v57
	;; [unrolled: 1-line block ×4, first 2 shown]
	v_fma_f32 v38, v38, 2.0, -v34
	v_fma_f32 v39, v39, 2.0, -v35
	;; [unrolled: 1-line block ×4, first 2 shown]
	ds_write2_b64 v121, v[32:33], v[30:31] offset0:112 offset1:140
	ds_write2_b64 v122, v[38:39], v[34:35] offset1:28
	ds_write2_b64 v123, v[40:41], v[36:37] offset0:168 offset1:196
	s_waitcnt lgkmcnt(0)
	; wave barrier
	s_waitcnt lgkmcnt(0)
	ds_read2_b64 v[30:33], v102 offset0:112 offset1:128
	ds_read2_b64 v[34:37], v102 offset0:16 offset1:32
	;; [unrolled: 1-line block ×3, first 2 shown]
	s_waitcnt lgkmcnt(2)
	v_mul_f32_e32 v56, v75, v31
	v_fmac_f32_e32 v56, v74, v30
	s_waitcnt lgkmcnt(0)
	v_mul_f32_e32 v44, v85, v39
	v_mul_f32_e32 v30, v75, v30
	v_fmac_f32_e32 v44, v84, v38
	v_mul_f32_e32 v38, v85, v38
	v_fma_f32 v57, v74, v31, -v30
	v_mul_f32_e32 v42, v77, v33
	v_mul_f32_e32 v30, v77, v32
	v_fma_f32 v45, v84, v39, -v38
	v_mul_f32_e32 v38, v83, v40
	v_fmac_f32_e32 v42, v76, v32
	v_fma_f32 v43, v76, v33, -v30
	ds_read2_b64 v[30:33], v102 offset0:176 offset1:192
	v_fma_f32 v49, v82, v41, -v38
	ds_read_b64 v[38:39], v102 offset:1664
	v_mul_f32_e32 v48, v83, v41
	v_sub_f32_e32 v44, v36, v44
	s_waitcnt lgkmcnt(1)
	v_mul_f32_e32 v50, v81, v31
	v_fmac_f32_e32 v50, v80, v30
	s_waitcnt lgkmcnt(0)
	v_mul_f32_e32 v54, v65, v39
	v_mul_f32_e32 v30, v81, v30
	v_fmac_f32_e32 v54, v64, v38
	v_mul_f32_e32 v38, v65, v38
	v_fma_f32 v51, v80, v31, -v30
	v_mul_f32_e32 v52, v79, v33
	v_mul_f32_e32 v30, v79, v32
	v_fma_f32 v55, v64, v39, -v38
	v_sub_f32_e32 v38, v34, v42
	v_sub_f32_e32 v39, v35, v43
	;; [unrolled: 1-line block ×3, first 2 shown]
	v_fmac_f32_e32 v48, v82, v40
	v_fmac_f32_e32 v52, v78, v32
	v_fma_f32 v53, v78, v33, -v30
	ds_read2_b64 v[30:33], v102 offset0:48 offset1:64
	ds_read_b64 v[40:41], v103
	v_fma_f32 v42, v34, 2.0, -v38
	v_fma_f32 v43, v35, 2.0, -v39
	;; [unrolled: 1-line block ×4, first 2 shown]
	ds_read2_b64 v[34:37], v102 offset0:80 offset1:96
	s_waitcnt lgkmcnt(2)
	v_sub_f32_e32 v48, v30, v48
	v_sub_f32_e32 v49, v31, v49
	v_sub_f32_e32 v50, v32, v50
	v_sub_f32_e32 v51, v33, v51
	s_waitcnt lgkmcnt(0)
	v_sub_f32_e32 v52, v34, v52
	v_sub_f32_e32 v53, v35, v53
	;; [unrolled: 1-line block ×6, first 2 shown]
	v_fma_f32 v30, v30, 2.0, -v48
	v_fma_f32 v31, v31, 2.0, -v49
	;; [unrolled: 1-line block ×10, first 2 shown]
	s_waitcnt lgkmcnt(0)
	; wave barrier
	ds_write2_b64 v103, v[40:41], v[56:57] offset1:56
	ds_write_b64 v102, v[42:43] offset:128
	ds_write_b64 v103, v[38:39] offset:576
	;; [unrolled: 1-line block ×4, first 2 shown]
	ds_write2_b64 v126, v[30:31], v[48:49] offset1:56
	ds_write2_b64 v103, v[32:33], v[34:35] offset0:120 offset1:136
	ds_write2_b64 v103, v[36:37], v[50:51] offset0:152 offset1:176
	;; [unrolled: 1-line block ×3, first 2 shown]
	s_waitcnt lgkmcnt(0)
	; wave barrier
	s_waitcnt lgkmcnt(0)
	ds_read2_b64 v[30:33], v102 offset0:112 offset1:128
	ds_read2_b64 v[34:37], v102 offset0:16 offset1:32
	;; [unrolled: 1-line block ×6, first 2 shown]
	ds_read_b64 v[54:55], v103
	ds_read_b64 v[56:57], v102 offset:1664
	s_waitcnt lgkmcnt(7)
	v_mul_f32_e32 v58, v93, v31
	v_fmac_f32_e32 v58, v92, v30
	v_mul_f32_e32 v30, v93, v30
	v_fma_f32 v31, v92, v31, -v30
	v_mul_f32_e32 v30, v91, v32
	v_fma_f32 v60, v90, v33, -v30
	s_waitcnt lgkmcnt(5)
	v_mul_f32_e32 v30, v89, v38
	v_fma_f32 v62, v88, v39, -v30
	v_mul_f32_e32 v30, v87, v40
	v_fma_f32 v64, v86, v41, -v30
	s_waitcnt lgkmcnt(3)
	v_mul_f32_e32 v30, v99, v46
	v_mul_f32_e32 v61, v89, v39
	v_fma_f32 v66, v98, v47, -v30
	v_mul_f32_e32 v30, v97, v48
	v_mul_f32_e32 v59, v91, v33
	v_fmac_f32_e32 v61, v88, v38
	v_mul_f32_e32 v63, v87, v41
	v_mul_f32_e32 v65, v99, v47
	;; [unrolled: 1-line block ×3, first 2 shown]
	v_fma_f32 v68, v96, v49, -v30
	s_waitcnt lgkmcnt(0)
	v_mul_f32_e32 v69, v95, v57
	v_mul_f32_e32 v30, v95, v56
	v_fmac_f32_e32 v59, v90, v32
	v_fmac_f32_e32 v63, v86, v40
	;; [unrolled: 1-line block ×5, first 2 shown]
	v_fma_f32 v57, v94, v57, -v30
	v_sub_f32_e32 v30, v54, v58
	v_sub_f32_e32 v31, v55, v31
	v_sub_f32_e32 v40, v36, v61
	v_sub_f32_e32 v41, v37, v62
	v_fma_f32 v32, v54, 2.0, -v30
	v_fma_f32 v33, v55, 2.0, -v31
	v_sub_f32_e32 v38, v34, v59
	v_sub_f32_e32 v39, v35, v60
	v_fma_f32 v36, v36, 2.0, -v40
	v_fma_f32 v37, v37, 2.0, -v41
	v_sub_f32_e32 v46, v42, v63
	v_sub_f32_e32 v47, v43, v64
	;; [unrolled: 1-line block ×8, first 2 shown]
	v_fma_f32 v34, v34, 2.0, -v38
	v_fma_f32 v35, v35, 2.0, -v39
	;; [unrolled: 1-line block ×10, first 2 shown]
	ds_write_b64 v103, v[32:33]
	ds_write2_b64 v102, v[30:31], v[38:39] offset0:112 offset1:128
	ds_write2_b64 v102, v[34:35], v[36:37] offset0:16 offset1:32
	;; [unrolled: 1-line block ×6, first 2 shown]
	ds_write_b64 v102, v[56:57] offset:1664
	s_waitcnt lgkmcnt(0)
	; wave barrier
	s_waitcnt lgkmcnt(0)
	ds_read_b64 v[30:31], v103
	ds_read_b64 v[36:37], v102 offset:1664
	v_mad_u64_u32 v[34:35], s[6:7], s0, v100, 0
	s_waitcnt lgkmcnt(1)
	v_mul_f32_e32 v32, v7, v31
	v_fmac_f32_e32 v32, v6, v30
	v_cvt_f64_f32_e32 v[32:33], v32
	v_mul_f32_e32 v7, v7, v30
	v_fma_f32 v6, v6, v31, -v7
	v_cvt_f64_f32_e32 v[6:7], v6
	v_mul_f64 v[30:31], v[32:33], s[2:3]
	v_mov_b32_e32 v32, v35
	v_mad_u64_u32 v[38:39], s[6:7], s1, v100, v[32:33]
	v_mul_f64 v[6:7], v[6:7], s[2:3]
	v_mov_b32_e32 v35, v38
	v_mov_b32_e32 v38, s5
	v_cvt_f32_f64_e32 v39, v[30:31]
	ds_read2_b64 v[30:33], v102 offset0:16 offset1:32
	v_cvt_f32_f64_e32 v40, v[6:7]
	v_lshlrev_b64 v[6:7], 3, v[28:29]
	s_waitcnt lgkmcnt(0)
	v_mul_f32_e32 v28, v9, v33
	v_mul_f32_e32 v9, v9, v32
	v_fmac_f32_e32 v28, v8, v32
	v_fma_f32 v8, v8, v33, -v9
	v_cvt_f64_f32_e32 v[28:29], v28
	v_cvt_f64_f32_e32 v[8:9], v8
	v_add_co_u32_e32 v41, vcc, s4, v6
	v_addc_co_u32_e32 v38, vcc, v38, v7, vcc
	v_lshlrev_b64 v[6:7], 3, v[34:35]
	v_mul_f64 v[28:29], v[28:29], s[2:3]
	v_mul_f64 v[32:33], v[8:9], s[2:3]
	v_add_co_u32_e32 v41, vcc, v41, v6
	v_addc_co_u32_e32 v42, vcc, v38, v7, vcc
	ds_read2_b64 v[6:9], v102 offset0:48 offset1:64
	global_store_dwordx2 v[41:42], v[39:40], off
	v_cvt_f32_f64_e32 v28, v[28:29]
	v_cvt_f32_f64_e32 v29, v[32:33]
	s_lshl_b64 s[4:5], s[0:1], 8
	s_waitcnt lgkmcnt(0)
	v_mul_f32_e32 v32, v1, v9
	v_fmac_f32_e32 v32, v0, v8
	v_cvt_f64_f32_e32 v[38:39], v32
	v_mul_f32_e32 v1, v1, v8
	ds_read2_b64 v[32:35], v102 offset0:80 offset1:96
	v_fma_f32 v0, v0, v9, -v1
	v_cvt_f64_f32_e32 v[0:1], v0
	v_mov_b32_e32 v43, s5
	v_add_co_u32_e32 v8, vcc, s4, v41
	v_addc_co_u32_e32 v9, vcc, v42, v43, vcc
	global_store_dwordx2 v[8:9], v[28:29], off
	v_mul_f64 v[28:29], v[38:39], s[2:3]
	s_waitcnt lgkmcnt(0)
	v_mul_f32_e32 v38, v3, v35
	v_mul_f64 v[0:1], v[0:1], s[2:3]
	v_fmac_f32_e32 v38, v2, v34
	v_cvt_f64_f32_e32 v[38:39], v38
	v_mul_f32_e32 v3, v3, v34
	v_fma_f32 v2, v2, v35, -v3
	v_cvt_f64_f32_e32 v[2:3], v2
	v_mul_f64 v[34:35], v[38:39], s[2:3]
	v_cvt_f32_f64_e32 v28, v[28:29]
	v_cvt_f32_f64_e32 v29, v[0:1]
	v_mul_f64 v[38:39], v[2:3], s[2:3]
	ds_read2_b64 v[0:3], v102 offset0:112 offset1:128
	v_add_co_u32_e32 v8, vcc, s4, v8
	v_addc_co_u32_e32 v9, vcc, v9, v43, vcc
	global_store_dwordx2 v[8:9], v[28:29], off
	v_cvt_f32_f64_e32 v28, v[34:35]
	s_waitcnt lgkmcnt(0)
	v_mul_f32_e32 v34, v5, v3
	v_fmac_f32_e32 v34, v4, v2
	v_mul_f32_e32 v2, v5, v2
	v_fma_f32 v2, v4, v3, -v2
	v_cvt_f32_f64_e32 v29, v[38:39]
	v_cvt_f64_f32_e32 v[38:39], v2
	ds_read2_b64 v[2:5], v102 offset0:144 offset1:160
	v_cvt_f64_f32_e32 v[34:35], v34
	v_add_co_u32_e32 v40, vcc, s4, v8
	v_addc_co_u32_e32 v41, vcc, v9, v43, vcc
	global_store_dwordx2 v[40:41], v[28:29], off
	v_mul_f64 v[28:29], v[38:39], s[2:3]
	v_mul_f64 v[8:9], v[34:35], s[2:3]
	s_waitcnt lgkmcnt(0)
	v_mul_f32_e32 v34, v11, v5
	v_fmac_f32_e32 v34, v10, v4
	v_mul_f32_e32 v4, v11, v4
	v_fma_f32 v4, v10, v5, -v4
	v_cvt_f64_f32_e32 v[34:35], v34
	v_cvt_f64_f32_e32 v[4:5], v4
	v_cvt_f32_f64_e32 v39, v[28:29]
	v_cvt_f32_f64_e32 v38, v[8:9]
	v_mul_f64 v[28:29], v[34:35], s[2:3]
	v_mul_f64 v[4:5], v[4:5], s[2:3]
	ds_read2_b64 v[8:11], v102 offset0:176 offset1:192
	v_add_co_u32_e32 v34, vcc, s4, v40
	v_addc_co_u32_e32 v35, vcc, v41, v43, vcc
	global_store_dwordx2 v[34:35], v[38:39], off
	v_cvt_f32_f64_e32 v28, v[28:29]
	v_cvt_f32_f64_e32 v29, v[4:5]
	s_waitcnt lgkmcnt(0)
	v_mul_f32_e32 v4, v15, v11
	v_fmac_f32_e32 v4, v14, v10
	v_mul_f32_e32 v10, v15, v10
	v_fma_f32 v10, v14, v11, -v10
	v_cvt_f64_f32_e32 v[4:5], v4
	v_cvt_f64_f32_e32 v[10:11], v10
	v_add_co_u32_e32 v14, vcc, s4, v34
	v_mul_f64 v[4:5], v[4:5], s[2:3]
	v_mul_f64 v[10:11], v[10:11], s[2:3]
	v_mul_f32_e32 v34, v23, v31
	v_mul_f32_e32 v23, v23, v30
	v_fmac_f32_e32 v34, v22, v30
	v_fma_f32 v22, v22, v31, -v23
	v_addc_co_u32_e32 v15, vcc, v35, v43, vcc
	v_cvt_f64_f32_e32 v[34:35], v34
	v_cvt_f64_f32_e32 v[22:23], v22
	global_store_dwordx2 v[14:15], v[28:29], off
	v_cvt_f32_f64_e32 v4, v[4:5]
	v_cvt_f32_f64_e32 v5, v[10:11]
	v_add_co_u32_e32 v10, vcc, s4, v14
	v_mul_f32_e32 v14, v13, v7
	v_fmac_f32_e32 v14, v12, v6
	v_mul_f64 v[28:29], v[34:35], s[2:3]
	v_mul_f64 v[22:23], v[22:23], s[2:3]
	v_addc_co_u32_e32 v11, vcc, v15, v43, vcc
	v_cvt_f64_f32_e32 v[14:15], v14
	v_mul_f32_e32 v6, v13, v6
	v_fma_f32 v6, v12, v7, -v6
	v_cvt_f64_f32_e32 v[6:7], v6
	v_mul_f64 v[12:13], v[14:15], s[2:3]
	v_mul_f32_e32 v14, v25, v33
	global_store_dwordx2 v[10:11], v[4:5], off
	v_mad_u64_u32 v[10:11], s[6:7], s0, v101, v[10:11]
	v_fmac_f32_e32 v14, v24, v32
	v_cvt_f32_f64_e32 v4, v[28:29]
	v_cvt_f32_f64_e32 v5, v[22:23]
	v_mul_f64 v[6:7], v[6:7], s[2:3]
	v_cvt_f64_f32_e32 v[14:15], v14
	s_mulk_i32 s1, 0xfa80
	s_sub_i32 s0, s1, s0
	v_add_u32_e32 v11, s0, v11
	global_store_dwordx2 v[10:11], v[4:5], off
	v_cvt_f32_f64_e32 v4, v[12:13]
	v_mul_f64 v[12:13], v[14:15], s[2:3]
	v_mul_f32_e32 v22, v25, v32
	v_fma_f32 v22, v24, v33, -v22
	v_cvt_f64_f32_e32 v[22:23], v22
	v_cvt_f32_f64_e32 v5, v[6:7]
	v_add_co_u32_e32 v6, vcc, s4, v10
	v_mul_f32_e32 v10, v17, v1
	v_fmac_f32_e32 v10, v16, v0
	v_mul_f32_e32 v0, v17, v0
	v_fma_f32 v0, v16, v1, -v0
	v_mul_f64 v[14:15], v[22:23], s[2:3]
	v_addc_co_u32_e32 v7, vcc, v11, v43, vcc
	v_cvt_f64_f32_e32 v[10:11], v10
	v_cvt_f64_f32_e32 v[0:1], v0
	global_store_dwordx2 v[6:7], v[4:5], off
	v_cvt_f32_f64_e32 v4, v[12:13]
	v_mul_f32_e32 v12, v27, v3
	v_fmac_f32_e32 v12, v26, v2
	v_mul_f32_e32 v2, v27, v2
	v_fma_f32 v2, v26, v3, -v2
	v_mul_f64 v[10:11], v[10:11], s[2:3]
	v_mul_f64 v[0:1], v[0:1], s[2:3]
	v_cvt_f64_f32_e32 v[2:3], v2
	v_cvt_f32_f64_e32 v5, v[14:15]
	v_cvt_f64_f32_e32 v[12:13], v12
	v_add_co_u32_e32 v6, vcc, s4, v6
	v_mul_f64 v[2:3], v[2:3], s[2:3]
	v_addc_co_u32_e32 v7, vcc, v7, v43, vcc
	global_store_dwordx2 v[6:7], v[4:5], off
	v_cvt_f32_f64_e32 v4, v[10:11]
	v_mul_f64 v[10:11], v[12:13], s[2:3]
	v_cvt_f32_f64_e32 v5, v[0:1]
	v_add_co_u32_e32 v0, vcc, s4, v6
	v_addc_co_u32_e32 v1, vcc, v7, v43, vcc
	global_store_dwordx2 v[0:1], v[4:5], off
	v_cvt_f32_f64_e32 v5, v[2:3]
	v_mul_f32_e32 v2, v19, v9
	v_mul_f32_e32 v6, v19, v8
	v_fmac_f32_e32 v2, v18, v8
	v_fma_f32 v6, v18, v9, -v6
	v_cvt_f64_f32_e32 v[2:3], v2
	v_cvt_f64_f32_e32 v[6:7], v6
	v_cvt_f32_f64_e32 v4, v[10:11]
	v_mul_f32_e32 v8, v21, v37
	v_mul_f32_e32 v10, v21, v36
	v_fmac_f32_e32 v8, v20, v36
	v_fma_f32 v10, v20, v37, -v10
	v_mul_f64 v[2:3], v[2:3], s[2:3]
	v_mul_f64 v[6:7], v[6:7], s[2:3]
	v_cvt_f64_f32_e32 v[8:9], v8
	v_cvt_f64_f32_e32 v[10:11], v10
	v_add_co_u32_e32 v0, vcc, s4, v0
	v_addc_co_u32_e32 v1, vcc, v1, v43, vcc
	global_store_dwordx2 v[0:1], v[4:5], off
	v_mul_f64 v[4:5], v[8:9], s[2:3]
	v_mul_f64 v[8:9], v[10:11], s[2:3]
	v_cvt_f32_f64_e32 v2, v[2:3]
	v_cvt_f32_f64_e32 v3, v[6:7]
	v_add_co_u32_e32 v0, vcc, s4, v0
	v_addc_co_u32_e32 v1, vcc, v1, v43, vcc
	global_store_dwordx2 v[0:1], v[2:3], off
	v_cvt_f32_f64_e32 v2, v[4:5]
	v_cvt_f32_f64_e32 v3, v[8:9]
	v_add_co_u32_e32 v0, vcc, s4, v0
	v_addc_co_u32_e32 v1, vcc, v1, v43, vcc
	global_store_dwordx2 v[0:1], v[2:3], off
.LBB0_2:
	s_endpgm
	.section	.rodata,"a",@progbits
	.p2align	6, 0x0
	.amdhsa_kernel bluestein_single_back_len224_dim1_sp_op_CI_CI
		.amdhsa_group_segment_fixed_size 7168
		.amdhsa_private_segment_fixed_size 0
		.amdhsa_kernarg_size 104
		.amdhsa_user_sgpr_count 6
		.amdhsa_user_sgpr_private_segment_buffer 1
		.amdhsa_user_sgpr_dispatch_ptr 0
		.amdhsa_user_sgpr_queue_ptr 0
		.amdhsa_user_sgpr_kernarg_segment_ptr 1
		.amdhsa_user_sgpr_dispatch_id 0
		.amdhsa_user_sgpr_flat_scratch_init 0
		.amdhsa_user_sgpr_private_segment_size 0
		.amdhsa_uses_dynamic_stack 0
		.amdhsa_system_sgpr_private_segment_wavefront_offset 0
		.amdhsa_system_sgpr_workgroup_id_x 1
		.amdhsa_system_sgpr_workgroup_id_y 0
		.amdhsa_system_sgpr_workgroup_id_z 0
		.amdhsa_system_sgpr_workgroup_info 0
		.amdhsa_system_vgpr_workitem_id 0
		.amdhsa_next_free_vgpr 166
		.amdhsa_next_free_sgpr 20
		.amdhsa_reserve_vcc 1
		.amdhsa_reserve_flat_scratch 0
		.amdhsa_float_round_mode_32 0
		.amdhsa_float_round_mode_16_64 0
		.amdhsa_float_denorm_mode_32 3
		.amdhsa_float_denorm_mode_16_64 3
		.amdhsa_dx10_clamp 1
		.amdhsa_ieee_mode 1
		.amdhsa_fp16_overflow 0
		.amdhsa_exception_fp_ieee_invalid_op 0
		.amdhsa_exception_fp_denorm_src 0
		.amdhsa_exception_fp_ieee_div_zero 0
		.amdhsa_exception_fp_ieee_overflow 0
		.amdhsa_exception_fp_ieee_underflow 0
		.amdhsa_exception_fp_ieee_inexact 0
		.amdhsa_exception_int_div_zero 0
	.end_amdhsa_kernel
	.text
.Lfunc_end0:
	.size	bluestein_single_back_len224_dim1_sp_op_CI_CI, .Lfunc_end0-bluestein_single_back_len224_dim1_sp_op_CI_CI
                                        ; -- End function
	.section	.AMDGPU.csdata,"",@progbits
; Kernel info:
; codeLenInByte = 10836
; NumSgprs: 24
; NumVgprs: 166
; ScratchSize: 0
; MemoryBound: 0
; FloatMode: 240
; IeeeMode: 1
; LDSByteSize: 7168 bytes/workgroup (compile time only)
; SGPRBlocks: 2
; VGPRBlocks: 41
; NumSGPRsForWavesPerEU: 24
; NumVGPRsForWavesPerEU: 166
; Occupancy: 1
; WaveLimiterHint : 1
; COMPUTE_PGM_RSRC2:SCRATCH_EN: 0
; COMPUTE_PGM_RSRC2:USER_SGPR: 6
; COMPUTE_PGM_RSRC2:TRAP_HANDLER: 0
; COMPUTE_PGM_RSRC2:TGID_X_EN: 1
; COMPUTE_PGM_RSRC2:TGID_Y_EN: 0
; COMPUTE_PGM_RSRC2:TGID_Z_EN: 0
; COMPUTE_PGM_RSRC2:TIDIG_COMP_CNT: 0
	.type	__hip_cuid_819405ec69d127e0,@object ; @__hip_cuid_819405ec69d127e0
	.section	.bss,"aw",@nobits
	.globl	__hip_cuid_819405ec69d127e0
__hip_cuid_819405ec69d127e0:
	.byte	0                               ; 0x0
	.size	__hip_cuid_819405ec69d127e0, 1

	.ident	"AMD clang version 19.0.0git (https://github.com/RadeonOpenCompute/llvm-project roc-6.4.0 25133 c7fe45cf4b819c5991fe208aaa96edf142730f1d)"
	.section	".note.GNU-stack","",@progbits
	.addrsig
	.addrsig_sym __hip_cuid_819405ec69d127e0
	.amdgpu_metadata
---
amdhsa.kernels:
  - .args:
      - .actual_access:  read_only
        .address_space:  global
        .offset:         0
        .size:           8
        .value_kind:     global_buffer
      - .actual_access:  read_only
        .address_space:  global
        .offset:         8
        .size:           8
        .value_kind:     global_buffer
      - .actual_access:  read_only
        .address_space:  global
        .offset:         16
        .size:           8
        .value_kind:     global_buffer
      - .actual_access:  read_only
        .address_space:  global
        .offset:         24
        .size:           8
        .value_kind:     global_buffer
      - .actual_access:  read_only
        .address_space:  global
        .offset:         32
        .size:           8
        .value_kind:     global_buffer
      - .offset:         40
        .size:           8
        .value_kind:     by_value
      - .address_space:  global
        .offset:         48
        .size:           8
        .value_kind:     global_buffer
      - .address_space:  global
        .offset:         56
        .size:           8
        .value_kind:     global_buffer
      - .address_space:  global
        .offset:         64
        .size:           8
        .value_kind:     global_buffer
      - .address_space:  global
        .offset:         72
        .size:           8
        .value_kind:     global_buffer
      - .offset:         80
        .size:           4
        .value_kind:     by_value
      - .address_space:  global
        .offset:         88
        .size:           8
        .value_kind:     global_buffer
      - .address_space:  global
        .offset:         96
        .size:           8
        .value_kind:     global_buffer
    .group_segment_fixed_size: 7168
    .kernarg_segment_align: 8
    .kernarg_segment_size: 104
    .language:       OpenCL C
    .language_version:
      - 2
      - 0
    .max_flat_workgroup_size: 64
    .name:           bluestein_single_back_len224_dim1_sp_op_CI_CI
    .private_segment_fixed_size: 0
    .sgpr_count:     24
    .sgpr_spill_count: 0
    .symbol:         bluestein_single_back_len224_dim1_sp_op_CI_CI.kd
    .uniform_work_group_size: 1
    .uses_dynamic_stack: false
    .vgpr_count:     166
    .vgpr_spill_count: 0
    .wavefront_size: 64
amdhsa.target:   amdgcn-amd-amdhsa--gfx906
amdhsa.version:
  - 1
  - 2
...

	.end_amdgpu_metadata
